;; amdgpu-corpus repo=ROCm/rocFFT kind=compiled arch=gfx906 opt=O3
	.text
	.amdgcn_target "amdgcn-amd-amdhsa--gfx906"
	.amdhsa_code_object_version 6
	.protected	bluestein_single_back_len780_dim1_sp_op_CI_CI ; -- Begin function bluestein_single_back_len780_dim1_sp_op_CI_CI
	.globl	bluestein_single_back_len780_dim1_sp_op_CI_CI
	.p2align	8
	.type	bluestein_single_back_len780_dim1_sp_op_CI_CI,@function
bluestein_single_back_len780_dim1_sp_op_CI_CI: ; @bluestein_single_back_len780_dim1_sp_op_CI_CI
; %bb.0:
	v_mul_u32_u24_e32 v1, 0x349, v0
	s_load_dwordx4 s[16:19], s[4:5], 0x28
	v_lshrrev_b32_e32 v1, 16, v1
	v_mad_u64_u32 v[68:69], s[0:1], s6, 3, v[1:2]
	v_mov_b32_e32 v69, 0
	s_waitcnt lgkmcnt(0)
	v_cmp_gt_u64_e32 vcc, s[16:17], v[68:69]
	s_and_saveexec_b64 s[0:1], vcc
	s_cbranch_execz .LBB0_18
; %bb.1:
	s_load_dwordx4 s[0:3], s[4:5], 0x18
	s_load_dwordx4 s[8:11], s[4:5], 0x0
	v_mul_lo_u16_e32 v1, 0x4e, v1
	v_sub_u16_e32 v93, v0, v1
	v_lshlrev_b32_e32 v101, 3, v93
	s_waitcnt lgkmcnt(0)
	s_load_dwordx4 s[12:15], s[0:1], 0x0
	global_load_dwordx2 v[71:72], v101, s[8:9]
	s_waitcnt lgkmcnt(0)
	v_mad_u64_u32 v[0:1], s[0:1], s14, v68, 0
	v_mad_u64_u32 v[2:3], s[0:1], s12, v93, 0
	s_mul_hi_u32 s7, s12, 0xfffff640
	s_mul_i32 s6, s13, 0xfffff640
	v_mad_u64_u32 v[4:5], s[0:1], s15, v68, v[1:2]
	s_sub_i32 s7, s7, s12
	s_add_i32 s6, s7, s6
	v_mad_u64_u32 v[5:6], s[0:1], s13, v93, v[3:4]
	v_mov_b32_e32 v1, v4
	v_lshlrev_b64 v[0:1], 3, v[0:1]
	v_mov_b32_e32 v6, s19
	v_mov_b32_e32 v3, v5
	v_add_co_u32_e32 v4, vcc, s18, v0
	v_addc_co_u32_e32 v5, vcc, v6, v1, vcc
	v_lshlrev_b64 v[0:1], 3, v[2:3]
	v_mov_b32_e32 v2, s9
	v_add_co_u32_e32 v0, vcc, v4, v0
	v_addc_co_u32_e32 v1, vcc, v5, v1, vcc
	v_add_co_u32_e32 v16, vcc, s8, v101
	s_mul_i32 s0, s13, 0xc30
	s_mul_hi_u32 s1, s12, 0xc30
	v_addc_co_u32_e32 v17, vcc, 0, v2, vcc
	s_add_i32 s0, s1, s0
	s_mul_i32 s1, s12, 0xc30
	v_mov_b32_e32 v3, s0
	v_add_co_u32_e32 v2, vcc, s1, v0
	v_addc_co_u32_e32 v3, vcc, v1, v3, vcc
	s_mul_i32 s7, s12, 0xfffff640
	v_mov_b32_e32 v5, s6
	v_add_co_u32_e32 v4, vcc, s7, v2
	v_addc_co_u32_e32 v5, vcc, v3, v5, vcc
	v_mov_b32_e32 v7, s0
	v_add_co_u32_e32 v6, vcc, s1, v4
	v_addc_co_u32_e32 v7, vcc, v5, v7, vcc
	global_load_dwordx2 v[8:9], v[0:1], off
	global_load_dwordx2 v[10:11], v[2:3], off
	;; [unrolled: 1-line block ×4, first 2 shown]
	global_load_dwordx2 v[75:76], v101, s[8:9] offset:3120
	global_load_dwordx2 v[69:70], v101, s[8:9] offset:3744
	v_mov_b32_e32 v1, s6
	v_add_co_u32_e32 v0, vcc, s7, v6
	v_addc_co_u32_e32 v1, vcc, v7, v1, vcc
	global_load_dwordx2 v[2:3], v[0:1], off
	global_load_dwordx2 v[73:74], v101, s[8:9] offset:624
	global_load_dwordx2 v[66:67], v101, s[8:9] offset:1248
	v_mov_b32_e32 v4, s0
	v_add_co_u32_e32 v0, vcc, s1, v0
	v_addc_co_u32_e32 v1, vcc, v1, v4, vcc
	s_movk_i32 s12, 0x1000
	v_add_co_u32_e32 v6, vcc, s12, v16
	v_addc_co_u32_e32 v7, vcc, 0, v17, vcc
	global_load_dwordx2 v[4:5], v[0:1], off
	v_mov_b32_e32 v16, s6
	v_add_co_u32_e32 v0, vcc, s7, v0
	v_addc_co_u32_e32 v1, vcc, v1, v16, vcc
	global_load_dwordx2 v[64:65], v[6:7], off offset:272
	global_load_dwordx2 v[16:17], v[0:1], off
	global_load_dwordx2 v[62:63], v101, s[8:9] offset:1872
	v_mov_b32_e32 v18, s0
	v_add_co_u32_e32 v0, vcc, s1, v0
	v_addc_co_u32_e32 v1, vcc, v1, v18, vcc
	global_load_dwordx2 v[20:21], v[0:1], off
	global_load_dwordx2 v[60:61], v[6:7], off offset:896
	v_mov_b32_e32 v18, s6
	v_add_co_u32_e32 v0, vcc, s7, v0
	v_addc_co_u32_e32 v1, vcc, v1, v18, vcc
	global_load_dwordx2 v[22:23], v[0:1], off
	global_load_dwordx2 v[58:59], v101, s[8:9] offset:2496
	v_mov_b32_e32 v18, s0
	v_add_co_u32_e32 v0, vcc, s1, v0
	v_addc_co_u32_e32 v1, vcc, v1, v18, vcc
	global_load_dwordx2 v[24:25], v[0:1], off
	global_load_dwordx2 v[56:57], v[6:7], off offset:1520
	s_mov_b32 s0, 0xaaaaaaab
	v_mul_hi_u32 v0, v68, s0
	s_load_dwordx2 s[12:13], s[4:5], 0x38
	s_movk_i32 s0, 0x4e
	s_load_dwordx4 s[4:7], s[2:3], 0x0
	v_lshrrev_b32_e32 v0, 1, v0
	v_lshl_add_u32 v0, v0, 1, v0
	v_sub_u32_e32 v0, v68, v0
	v_mul_u32_u24_e32 v106, 0x30c, v0
	v_lshlrev_b32_e32 v95, 3, v106
	v_add_u32_e32 v94, v101, v95
	v_add_co_u32_e32 v19, vcc, s0, v93
	s_movk_i32 s0, 0x9c
	v_add_co_u32_e32 v18, vcc, s0, v93
	s_movk_i32 s0, 0xea
	v_lshl_add_u32 v55, v19, 4, v95
	v_lshl_add_u32 v99, v18, 4, v95
	;; [unrolled: 1-line block ×3, first 2 shown]
	s_waitcnt vmcnt(18)
	v_mul_f32_e32 v0, v9, v72
	v_mul_f32_e32 v1, v8, v72
	v_fmac_f32_e32 v0, v8, v71
	v_fma_f32 v1, v9, v71, -v1
	s_waitcnt vmcnt(14)
	v_mul_f32_e32 v6, v11, v76
	v_mul_f32_e32 v7, v10, v76
	v_fmac_f32_e32 v6, v10, v75
	v_fma_f32 v7, v11, v75, -v7
	ds_write_b64 v94, v[6:7] offset:3120
	v_add_u32_e32 v8, 0xc00, v94
	s_waitcnt vmcnt(11)
	v_mul_f32_e32 v6, v13, v74
	v_mul_f32_e32 v7, v12, v74
	v_fmac_f32_e32 v6, v12, v73
	v_fma_f32 v7, v13, v73, -v7
	ds_write2_b64 v94, v[0:1], v[6:7] offset1:78
	s_waitcnt vmcnt(10)
	v_mul_f32_e32 v6, v3, v67
	v_fmac_f32_e32 v6, v2, v66
	v_mul_f32_e32 v2, v2, v67
	v_mul_f32_e32 v0, v15, v70
	;; [unrolled: 1-line block ×3, first 2 shown]
	v_fma_f32 v7, v3, v66, -v2
	v_fmac_f32_e32 v0, v14, v69
	v_fma_f32 v1, v15, v69, -v1
	s_waitcnt vmcnt(8)
	v_mul_f32_e32 v2, v5, v65
	v_mul_f32_e32 v3, v4, v65
	v_fmac_f32_e32 v2, v4, v64
	v_fma_f32 v3, v5, v64, -v3
	ds_write2_b64 v8, v[0:1], v[2:3] offset0:84 offset1:162
	s_waitcnt vmcnt(6)
	v_mul_f32_e32 v0, v17, v63
	v_mul_f32_e32 v1, v16, v63
	v_fmac_f32_e32 v0, v16, v62
	v_fma_f32 v1, v17, v62, -v1
	ds_write2_b64 v94, v[6:7], v[0:1] offset0:156 offset1:234
	s_waitcnt vmcnt(4)
	v_mul_f32_e32 v0, v21, v61
	v_mul_f32_e32 v1, v20, v61
	v_fmac_f32_e32 v0, v20, v60
	s_waitcnt vmcnt(2)
	v_mul_f32_e32 v2, v23, v59
	v_mul_f32_e32 v3, v22, v59
	v_fmac_f32_e32 v2, v22, v58
	v_fma_f32 v3, v23, v58, -v3
	ds_write_b64 v94, v[2:3] offset:2496
	v_fma_f32 v1, v21, v60, -v1
	s_waitcnt vmcnt(0)
	v_mul_f32_e32 v2, v25, v57
	v_mul_f32_e32 v3, v24, v57
	v_fmac_f32_e32 v2, v24, v56
	v_fma_f32 v3, v25, v56, -v3
	v_add_u32_e32 v16, 0x1000, v94
	v_add_u32_e32 v17, 0x800, v94
	ds_write2_b64 v16, v[0:1], v[2:3] offset0:112 offset1:190
	s_waitcnt lgkmcnt(0)
	s_barrier
	ds_read2_b64 v[0:3], v94 offset1:78
	ds_read2_b64 v[4:7], v17 offset0:56 offset1:134
	ds_read2_b64 v[8:11], v8 offset0:84 offset1:162
	ds_read2_b64 v[12:15], v94 offset0:156 offset1:234
	ds_read2_b64 v[21:24], v16 offset0:112 offset1:190
	v_add_co_u32_e32 v20, vcc, s0, v93
	s_waitcnt lgkmcnt(2)
	v_sub_f32_e32 v8, v2, v8
	v_sub_f32_e32 v9, v3, v9
	s_waitcnt lgkmcnt(0)
	v_sub_f32_e32 v34, v4, v23
	v_sub_f32_e32 v27, v0, v6
	v_sub_f32_e32 v28, v1, v7
	v_fma_f32 v6, v2, 2.0, -v8
	v_fma_f32 v7, v3, 2.0, -v9
	v_sub_f32_e32 v2, v12, v10
	v_sub_f32_e32 v3, v13, v11
	v_fma_f32 v32, v4, 2.0, -v34
	v_lshlrev_b16_e32 v4, 1, v93
	v_fma_f32 v25, v0, 2.0, -v27
	v_fma_f32 v26, v1, 2.0, -v28
	;; [unrolled: 1-line block ×4, first 2 shown]
	v_sub_f32_e32 v12, v14, v21
	v_sub_f32_e32 v13, v15, v22
	;; [unrolled: 1-line block ×3, first 2 shown]
	v_lshl_add_u32 v54, v4, 3, v95
	v_fma_f32 v10, v14, 2.0, -v12
	v_fma_f32 v11, v15, 2.0, -v13
	;; [unrolled: 1-line block ×3, first 2 shown]
	s_barrier
	ds_write_b128 v54, v[25:28]
	ds_write_b128 v55, v[6:9]
	;; [unrolled: 1-line block ×3, first 2 shown]
	v_lshl_add_u32 v100, v20, 4, v95
	v_add_u32_e32 v0, 0x400, v94
	ds_write_b128 v100, v[10:13]
	ds_write_b128 v77, v[32:35] offset:4992
	s_waitcnt lgkmcnt(0)
	s_barrier
	ds_read2_b64 v[36:39], v94 offset1:78
	ds_read2_b64 v[40:43], v0 offset0:28 offset1:132
	ds_read2_b64 v[4:7], v16 offset0:8 offset1:86
	;; [unrolled: 1-line block ×3, first 2 shown]
	ds_read_b64 v[12:13], v94 offset:5408
	v_cmp_gt_u16_e32 vcc, 26, v93
                                        ; implicit-def: $vgpr14
                                        ; implicit-def: $vgpr16
	s_and_saveexec_b64 s[0:1], vcc
	s_cbranch_execz .LBB0_3
; %bb.2:
	ds_read_b64 v[34:35], v94 offset:1872
	ds_read_b64 v[14:15], v94 offset:3952
	;; [unrolled: 1-line block ×3, first 2 shown]
.LBB0_3:
	s_or_b64 exec, exec, s[0:1]
	v_and_b32_e32 v98, 1, v93
	v_lshlrev_b32_e32 v0, 4, v98
	global_load_dwordx4 v[0:3], v0, s[10:11]
	v_lshrrev_b32_e32 v105, 1, v20
	s_waitcnt vmcnt(0) lgkmcnt(0)
	s_barrier
	v_mul_f32_e32 v21, v43, v1
	v_mul_f32_e32 v23, v5, v3
	;; [unrolled: 1-line block ×12, first 2 shown]
	v_fma_f32 v21, v42, v0, -v21
	v_mul_f32_e32 v22, v42, v1
	v_mul_f32_e32 v27, v7, v3
	;; [unrolled: 1-line block ×4, first 2 shown]
	v_fma_f32 v4, v4, v2, -v23
	v_fmac_f32_e32 v24, v5, v2
	v_fma_f32 v5, v8, v0, -v25
	v_fmac_f32_e32 v26, v9, v0
	v_fmac_f32_e32 v30, v7, v2
	v_fma_f32 v7, v10, v0, -v28
	v_fmac_f32_e32 v29, v11, v0
	v_fma_f32 v8, v12, v2, -v31
	;; [unrolled: 2-line block ×3, first 2 shown]
	v_fmac_f32_e32 v52, v15, v0
	v_add_f32_e32 v11, v36, v21
	v_fmac_f32_e32 v22, v43, v0
	v_fma_f32 v6, v6, v2, -v27
	v_fma_f32 v10, v16, v2, -v44
	v_fmac_f32_e32 v53, v17, v2
	v_add_f32_e32 v12, v21, v4
	v_sub_f32_e32 v16, v21, v4
	v_add_f32_e32 v27, v7, v8
	v_add_f32_e32 v42, v29, v32
	;; [unrolled: 1-line block ×5, first 2 shown]
	v_sub_f32_e32 v13, v22, v24
	v_add_f32_e32 v14, v37, v22
	v_add_f32_e32 v15, v22, v24
	v_sub_f32_e32 v22, v26, v30
	v_add_f32_e32 v23, v39, v26
	v_add_f32_e32 v25, v26, v30
	;; [unrolled: 1-line block ×5, first 2 shown]
	v_fma_f32 v40, -0.5, v27, v40
	v_fmac_f32_e32 v41, -0.5, v42
	v_add_f32_e32 v42, v43, v10
	v_add_f32_e32 v43, v4, v53
	;; [unrolled: 1-line block ×3, first 2 shown]
	v_sub_f32_e32 v33, v29, v32
	v_fmac_f32_e32 v34, -0.5, v50
	v_mov_b32_e32 v50, v40
	v_fmac_f32_e32 v35, -0.5, v4
	v_fmac_f32_e32 v40, 0xbf5db3d7, v33
	v_fmac_f32_e32 v50, 0x3f5db3d7, v33
	v_sub_f32_e32 v4, v9, v10
	v_mov_b32_e32 v33, v35
	v_fmac_f32_e32 v33, 0xbf5db3d7, v4
	v_fmac_f32_e32 v35, 0x3f5db3d7, v4
	v_lshrrev_b32_e32 v4, 1, v93
	v_mul_u32_u24_e32 v4, 6, v4
	v_or_b32_e32 v4, v4, v98
	v_lshl_add_u32 v102, v4, 3, v95
	v_lshrrev_b32_e32 v4, 1, v19
	v_mul_u32_u24_e32 v4, 6, v4
	v_or_b32_e32 v4, v4, v98
	v_add_f32_e32 v21, v5, v6
	v_lshl_add_u32 v103, v4, 3, v95
	v_lshrrev_b32_e32 v4, 1, v18
	v_add_f32_e32 v17, v38, v5
	v_fma_f32 v44, -0.5, v12, v36
	v_fma_f32 v45, -0.5, v15, v37
	v_fma_f32 v38, -0.5, v21, v38
	v_fmac_f32_e32 v39, -0.5, v25
	v_mul_u32_u24_e32 v4, 6, v4
	v_sub_f32_e32 v5, v5, v6
	v_sub_f32_e32 v7, v7, v8
	;; [unrolled: 1-line block ×3, first 2 shown]
	v_add_f32_e32 v47, v23, v30
	v_add_f32_e32 v49, v31, v32
	v_mov_b32_e32 v30, v44
	v_mov_b32_e32 v31, v45
	;; [unrolled: 1-line block ×6, first 2 shown]
	v_or_b32_e32 v4, v4, v98
	v_add_f32_e32 v29, v14, v24
	v_add_f32_e32 v46, v17, v6
	;; [unrolled: 1-line block ×3, first 2 shown]
	v_fmac_f32_e32 v44, 0xbf5db3d7, v13
	v_fmac_f32_e32 v45, 0x3f5db3d7, v16
	;; [unrolled: 1-line block ×12, first 2 shown]
	v_lshl_add_u32 v104, v4, 3, v95
	ds_write2_b64 v102, v[28:29], v[30:31] offset1:2
	ds_write_b64 v102, v[44:45] offset:32
	ds_write2_b64 v103, v[46:47], v[36:37] offset1:2
	ds_write_b64 v103, v[38:39] offset:32
	;; [unrolled: 2-line block ×3, first 2 shown]
	s_and_saveexec_b64 s[0:1], vcc
	s_cbranch_execz .LBB0_5
; %bb.4:
	v_mul_u32_u24_e32 v4, 6, v105
	v_or_b32_e32 v4, v4, v98
	v_lshl_add_u32 v4, v4, 3, v95
	ds_write2_b64 v4, v[42:43], v[32:33] offset1:2
	ds_write_b64 v4, v[34:35] offset:32
.LBB0_5:
	s_or_b64 exec, exec, s[0:1]
	v_cmp_gt_u16_e64 s[0:1], 60, v93
	s_waitcnt lgkmcnt(0)
	s_barrier
	s_waitcnt lgkmcnt(0)
                                        ; implicit-def: $vgpr52
	s_and_saveexec_b64 s[2:3], s[0:1]
	s_cbranch_execz .LBB0_7
; %bb.6:
	v_add_u32_e32 v4, 0x400, v94
	ds_read2_b64 v[28:31], v94 offset1:60
	ds_read2_b64 v[44:47], v94 offset0:120 offset1:180
	ds_read2_b64 v[36:39], v4 offset0:112 offset1:172
	v_add_u32_e32 v4, 0x800, v94
	ds_read2_b64 v[48:51], v4 offset0:104 offset1:164
	v_add_u32_e32 v4, 0xc00, v94
	;; [unrolled: 2-line block ×3, first 2 shown]
	ds_read2_b64 v[32:35], v4 offset0:88 offset1:148
	ds_read_b64 v[52:53], v94 offset:5760
.LBB0_7:
	s_or_b64 exec, exec, s[2:3]
	s_movk_i32 s2, 0xab
	v_mul_lo_u16_sdwa v4, v93, s2 dst_sel:DWORD dst_unused:UNUSED_PAD src0_sel:BYTE_0 src1_sel:DWORD
	v_lshrrev_b16_e32 v96, 10, v4
	v_mul_lo_u16_e32 v4, 6, v96
	v_sub_u16_e32 v4, v93, v4
	v_and_b32_e32 v97, 0xff, v4
	v_mov_b32_e32 v4, s10
	s_movk_i32 s2, 0x60
	v_mov_b32_e32 v5, s11
	v_mad_u64_u32 v[78:79], s[2:3], v97, s2, v[4:5]
	global_load_dwordx4 v[16:19], v[78:79], off offset:32
	global_load_dwordx4 v[12:15], v[78:79], off offset:48
	;; [unrolled: 1-line block ×6, first 2 shown]
	s_mov_b32 s14, 0x3f62ad3f
	s_mov_b32 s15, 0x3f116cb1
	;; [unrolled: 1-line block ×6, first 2 shown]
	s_waitcnt vmcnt(0) lgkmcnt(0)
	s_barrier
	v_mul_f32_e32 v78, v30, v17
	v_mul_f32_e32 v87, v31, v17
	;; [unrolled: 1-line block ×4, first 2 shown]
	v_fmac_f32_e32 v78, v31, v16
	v_mul_f32_e32 v110, v52, v27
	v_mul_f32_e32 v108, v34, v25
	;; [unrolled: 1-line block ×3, first 2 shown]
	v_fmac_f32_e32 v110, v53, v26
	v_mul_f32_e32 v88, v45, v19
	v_mul_f32_e32 v89, v47, v13
	;; [unrolled: 1-line block ×5, first 2 shown]
	v_fma_f32 v109, v30, v16, -v87
	v_fmac_f32_e32 v79, v45, v18
	v_fmac_f32_e32 v80, v47, v12
	;; [unrolled: 1-line block ×3, first 2 shown]
	v_fma_f32 v47, v52, v26, -v116
	v_sub_f32_e32 v119, v78, v110
	v_mul_f32_e32 v90, v37, v15
	v_mul_f32_e32 v111, v51, v9
	;; [unrolled: 1-line block ×6, first 2 shown]
	v_fma_f32 v44, v44, v18, -v88
	v_fmac_f32_e32 v84, v51, v8
	v_fmac_f32_e32 v86, v43, v20
	v_fma_f32 v43, v34, v24, -v115
	v_sub_f32_e32 v123, v109, v47
	v_sub_f32_e32 v120, v79, v108
	v_mul_f32_e32 v51, 0xbeedf032, v119
	v_mul_f32_e32 v81, v36, v15
	;; [unrolled: 1-line block ×6, first 2 shown]
	v_fma_f32 v45, v46, v12, -v89
	v_fma_f32 v46, v36, v14, -v90
	v_fmac_f32_e32 v85, v41, v10
	v_fma_f32 v41, v42, v20, -v113
	v_fma_f32 v42, v32, v22, -v114
	v_fmac_f32_e32 v107, v33, v22
	v_add_f32_e32 v30, v109, v47
	v_add_f32_e32 v32, v78, v110
	v_sub_f32_e32 v124, v44, v43
	v_mul_f32_e32 v113, 0xbeedf032, v123
	v_mul_f32_e32 v52, 0xbf52af12, v120
	v_mov_b32_e32 v36, v51
	v_mul_f32_e32 v82, v38, v5
	v_fmac_f32_e32 v81, v37, v14
	v_fma_f32 v37, v38, v4, -v91
	v_fma_f32 v38, v48, v6, -v92
	v_fmac_f32_e32 v83, v49, v6
	v_add_f32_e32 v31, v44, v43
	v_add_f32_e32 v33, v79, v108
	v_sub_f32_e32 v127, v45, v42
	v_sub_f32_e32 v122, v80, v107
	v_mul_f32_e32 v114, 0xbf52af12, v124
	v_fma_f32 v48, v32, s14, -v113
	v_mov_b32_e32 v49, v52
	v_fmac_f32_e32 v36, 0x3f62ad3f, v30
	v_fmac_f32_e32 v82, v39, v4
	v_fma_f32 v39, v50, v8, -v111
	v_add_f32_e32 v35, v80, v107
	v_mul_f32_e32 v53, 0xbf7e222b, v122
	v_mul_f32_e32 v115, 0xbf7e222b, v127
	v_fma_f32 v50, v33, s15, -v114
	v_add_f32_e32 v48, v29, v48
	v_fmac_f32_e32 v49, 0x3f116cb1, v31
	v_add_f32_e32 v36, v28, v36
	v_sub_f32_e32 v128, v81, v86
	v_add_f32_e32 v34, v45, v42
	v_mov_b32_e32 v87, v53
	v_add_f32_e32 v48, v50, v48
	v_add_f32_e32 v36, v49, v36
	v_fma_f32 v49, v35, s16, -v115
	v_mul_f32_e32 v117, 0xbf6f5d39, v128
	v_fmac_f32_e32 v87, 0x3df6dbef, v34
	v_add_f32_e32 v50, v49, v48
	v_add_f32_e32 v48, v46, v41
	v_mov_b32_e32 v49, v117
	v_add_f32_e32 v36, v87, v36
	v_fmac_f32_e32 v49, 0xbeb58ec6, v48
	v_sub_f32_e32 v133, v46, v41
	v_add_f32_e32 v36, v49, v36
	v_add_f32_e32 v49, v81, v86
	v_mul_f32_e32 v118, 0xbf6f5d39, v133
	v_sub_f32_e32 v131, v82, v85
	v_fma_f32 v40, v40, v10, -v112
	v_fma_f32 v87, v49, s17, -v118
	v_mul_f32_e32 v121, 0xbf29c268, v131
	v_add_f32_e32 v87, v87, v50
	v_add_f32_e32 v50, v37, v40
	v_mov_b32_e32 v88, v121
	v_sub_f32_e32 v142, v37, v40
	v_fmac_f32_e32 v88, 0xbf3f9e67, v50
	v_add_f32_e32 v111, v82, v85
	v_mul_f32_e32 v125, 0xbf29c268, v142
	v_sub_f32_e32 v141, v83, v84
	v_add_f32_e32 v36, v88, v36
	v_fma_f32 v88, v111, s19, -v125
	v_mul_f32_e32 v126, 0xbe750f2a, v141
	v_add_f32_e32 v88, v88, v87
	v_add_f32_e32 v112, v38, v39
	v_mov_b32_e32 v87, v126
	v_sub_f32_e32 v146, v38, v39
	v_fmac_f32_e32 v87, 0xbf788fa5, v112
	v_add_f32_e32 v116, v83, v84
	v_mul_f32_e32 v129, 0xbe750f2a, v146
	v_add_f32_e32 v87, v87, v36
	v_fma_f32 v36, v116, s18, -v129
	v_mul_f32_e32 v130, 0xbf52af12, v119
	v_add_f32_e32 v88, v36, v88
	v_mov_b32_e32 v36, v130
	v_mul_f32_e32 v132, 0xbf6f5d39, v120
	v_fmac_f32_e32 v36, 0x3f116cb1, v30
	v_mov_b32_e32 v89, v132
	v_add_f32_e32 v36, v28, v36
	v_fmac_f32_e32 v89, 0xbeb58ec6, v31
	v_mul_f32_e32 v136, 0xbf52af12, v123
	v_add_f32_e32 v36, v89, v36
	v_fma_f32 v89, v32, s15, -v136
	v_mul_f32_e32 v138, 0xbf6f5d39, v124
	v_add_f32_e32 v89, v29, v89
	v_fma_f32 v90, v33, s17, -v138
	v_mul_f32_e32 v134, 0xbe750f2a, v122
	v_add_f32_e32 v89, v90, v89
	v_mov_b32_e32 v90, v134
	v_fmac_f32_e32 v90, 0xbf788fa5, v34
	v_mul_f32_e32 v140, 0xbe750f2a, v127
	v_add_f32_e32 v36, v90, v36
	v_fma_f32 v90, v35, s18, -v140
	v_mul_f32_e32 v135, 0x3f29c268, v128
	v_add_f32_e32 v89, v90, v89
	v_mov_b32_e32 v90, v135
	v_fmac_f32_e32 v90, 0xbf3f9e67, v48
	;; [unrolled: 7-line block ×4, first 2 shown]
	v_mul_f32_e32 v145, 0x3eedf032, v146
	v_add_f32_e32 v89, v89, v36
	v_fma_f32 v36, v116, s14, -v145
	v_mul_f32_e32 v147, 0xbf7e222b, v119
	v_add_f32_e32 v90, v36, v90
	v_mov_b32_e32 v36, v147
	v_mul_f32_e32 v148, 0xbe750f2a, v120
	v_fmac_f32_e32 v36, 0x3df6dbef, v30
	v_mov_b32_e32 v91, v148
	v_add_f32_e32 v36, v28, v36
	v_fmac_f32_e32 v91, 0xbf788fa5, v31
	v_mul_f32_e32 v151, 0xbf7e222b, v123
	v_add_f32_e32 v36, v91, v36
	v_fma_f32 v91, v32, s16, -v151
	v_mul_f32_e32 v153, 0xbe750f2a, v124
	v_add_f32_e32 v91, v29, v91
	v_fma_f32 v92, v33, s18, -v153
	v_mul_f32_e32 v149, 0x3f6f5d39, v122
	v_add_f32_e32 v91, v92, v91
	v_mov_b32_e32 v92, v149
	v_fmac_f32_e32 v92, 0xbeb58ec6, v34
	v_mul_f32_e32 v155, 0x3f6f5d39, v127
	v_add_f32_e32 v36, v92, v36
	v_fma_f32 v92, v35, s17, -v155
	v_mul_f32_e32 v150, 0x3eedf032, v128
	v_add_f32_e32 v91, v92, v91
	v_mov_b32_e32 v92, v150
	v_fmac_f32_e32 v92, 0x3f62ad3f, v48
	;; [unrolled: 7-line block ×4, first 2 shown]
	v_mul_f32_e32 v158, 0xbf29c268, v146
	v_add_f32_e32 v91, v91, v36
	v_fma_f32 v36, v116, s19, -v158
	v_add_f32_e32 v92, v36, v92
	v_add_u32_e32 v36, 0x1380, v77
	s_and_saveexec_b64 s[2:3], s[0:1]
	s_cbranch_execz .LBB0_9
; %bb.8:
	v_mul_f32_e32 v163, 0xbf3f9e67, v32
	v_mov_b32_e32 v159, v163
	v_mul_f32_e32 v164, 0x3df6dbef, v33
	v_fmac_f32_e32 v159, 0x3f29c268, v123
	v_mov_b32_e32 v160, v164
	v_add_f32_e32 v159, v29, v159
	v_fmac_f32_e32 v160, 0xbf7e222b, v124
	v_mul_f32_e32 v200, 0x3f116cb1, v35
	v_add_f32_e32 v159, v160, v159
	v_mov_b32_e32 v160, v200
	v_fmac_f32_e32 v160, 0x3f52af12, v127
	v_mul_f32_e32 v201, 0xbf788fa5, v49
	v_add_f32_e32 v159, v160, v159
	v_mov_b32_e32 v160, v201
	;; [unrolled: 4-line block ×5, first 2 shown]
	v_mul_f32_e32 v205, 0x3f7e222b, v120
	v_fmac_f32_e32 v159, 0xbf3f9e67, v30
	v_mov_b32_e32 v161, v205
	v_add_f32_e32 v159, v28, v159
	v_fmac_f32_e32 v161, 0x3df6dbef, v31
	v_mul_f32_e32 v206, 0xbf52af12, v122
	v_add_f32_e32 v159, v161, v159
	v_mov_b32_e32 v161, v206
	v_fmac_f32_e32 v161, 0x3f116cb1, v34
	v_mul_f32_e32 v207, 0x3e750f2a, v128
	v_add_f32_e32 v159, v161, v159
	v_mov_b32_e32 v161, v207
	;; [unrolled: 4-line block ×5, first 2 shown]
	v_mul_f32_e32 v211, 0x3eedf032, v124
	v_fmac_f32_e32 v161, 0xbf788fa5, v32
	v_mov_b32_e32 v162, v211
	v_add_f32_e32 v161, v29, v161
	v_fmac_f32_e32 v162, 0x3f62ad3f, v33
	v_mul_f32_e32 v212, 0xbf29c268, v127
	v_add_f32_e32 v161, v162, v161
	v_mov_b32_e32 v162, v212
	v_fmac_f32_e32 v163, 0xbf29c268, v123
	v_fmac_f32_e32 v162, 0xbf3f9e67, v35
	v_mul_f32_e32 v213, 0x3f52af12, v133
	v_add_f32_e32 v163, v29, v163
	v_fmac_f32_e32 v164, 0x3f7e222b, v124
	v_mul_f32_e32 v77, 0x3f62ad3f, v30
	v_mul_f32_e32 v165, 0x3f62ad3f, v32
	v_add_f32_e32 v161, v162, v161
	v_mov_b32_e32 v162, v213
	v_add_f32_e32 v163, v164, v163
	v_fmac_f32_e32 v200, 0xbf52af12, v127
	v_mul_f32_e32 v170, 0x3f116cb1, v31
	v_mul_f32_e32 v171, 0x3f116cb1, v33
	v_fmac_f32_e32 v162, 0x3f116cb1, v49
	v_mul_f32_e32 v214, 0xbf6f5d39, v142
	v_add_f32_e32 v163, v200, v163
	v_fmac_f32_e32 v201, 0x3e750f2a, v133
	v_add_f32_e32 v113, v113, v165
	v_sub_f32_e32 v51, v77, v51
	v_mul_f32_e32 v176, 0x3df6dbef, v34
	v_mul_f32_e32 v177, 0x3df6dbef, v35
	v_add_f32_e32 v161, v162, v161
	v_mov_b32_e32 v162, v214
	v_add_f32_e32 v163, v201, v163
	v_fmac_f32_e32 v202, 0x3eedf032, v142
	v_add_f32_e32 v113, v29, v113
	v_add_f32_e32 v114, v114, v171
	;; [unrolled: 1-line block ×3, first 2 shown]
	v_sub_f32_e32 v52, v170, v52
	v_mul_f32_e32 v182, 0xbeb58ec6, v48
	v_mul_f32_e32 v183, 0xbeb58ec6, v49
	v_fmac_f32_e32 v162, 0xbeb58ec6, v111
	v_mul_f32_e32 v215, 0x3f7e222b, v146
	v_add_f32_e32 v163, v202, v163
	v_fmac_f32_e32 v203, 0xbf6f5d39, v146
	v_add_f32_e32 v113, v114, v113
	v_add_f32_e32 v114, v115, v177
	;; [unrolled: 1-line block ×3, first 2 shown]
	v_sub_f32_e32 v52, v176, v53
	v_mul_f32_e32 v188, 0xbf3f9e67, v50
	v_mul_f32_e32 v189, 0xbf3f9e67, v111
	v_add_f32_e32 v161, v162, v161
	v_mov_b32_e32 v162, v215
	v_add_f32_e32 v164, v203, v163
	v_fma_f32 v163, v30, s19, -v204
	v_add_f32_e32 v113, v114, v113
	v_add_f32_e32 v114, v118, v183
	;; [unrolled: 1-line block ×3, first 2 shown]
	v_sub_f32_e32 v52, v182, v117
	v_mul_f32_e32 v194, 0xbf788fa5, v112
	v_mul_f32_e32 v195, 0xbf788fa5, v116
	v_fmac_f32_e32 v162, 0x3df6dbef, v116
	v_mul_f32_e32 v216, 0xbe750f2a, v119
	v_add_f32_e32 v163, v28, v163
	v_fma_f32 v200, v31, s16, -v205
	v_add_f32_e32 v113, v114, v113
	v_add_f32_e32 v114, v125, v189
	;; [unrolled: 1-line block ×3, first 2 shown]
	v_sub_f32_e32 v52, v188, v121
	v_add_f32_e32 v162, v162, v161
	v_fma_f32 v161, v30, s18, -v216
	v_mul_f32_e32 v217, 0x3eedf032, v120
	v_add_f32_e32 v163, v200, v163
	v_fma_f32 v200, v34, s15, -v206
	v_add_f32_e32 v113, v114, v113
	v_add_f32_e32 v114, v129, v195
	;; [unrolled: 1-line block ×3, first 2 shown]
	v_sub_f32_e32 v52, v194, v126
	v_add_f32_e32 v161, v28, v161
	v_fma_f32 v218, v31, s14, -v217
	v_add_f32_e32 v163, v200, v163
	v_fma_f32 v200, v48, s18, -v207
	v_add_f32_e32 v114, v114, v113
	v_add_f32_e32 v113, v52, v51
	;; [unrolled: 1-line block ×4, first 2 shown]
	v_mul_f32_e32 v218, 0xbf29c268, v122
	v_add_f32_e32 v163, v200, v163
	v_fma_f32 v200, v50, s14, -v208
	v_add_f32_e32 v51, v51, v79
	v_fma_f32 v219, v34, s19, -v218
	v_add_f32_e32 v163, v200, v163
	v_fma_f32 v200, v112, s17, -v209
	v_mul_f32_e32 v202, 0xbf6f5d39, v119
	v_add_f32_e32 v51, v51, v80
	v_add_f32_e32 v161, v219, v161
	v_mul_f32_e32 v219, 0x3f52af12, v128
	v_add_f32_e32 v163, v200, v163
	v_mul_f32_e32 v200, 0xbf6f5d39, v123
	v_fma_f32 v119, v30, s17, -v202
	v_mul_f32_e32 v203, 0x3f29c268, v120
	v_add_f32_e32 v51, v51, v81
	v_fma_f32 v220, v48, s15, -v219
	v_mov_b32_e32 v123, v200
	v_mul_f32_e32 v124, 0x3f29c268, v124
	v_add_f32_e32 v119, v28, v119
	v_fma_f32 v120, v31, s19, -v203
	v_mul_f32_e32 v204, 0x3eedf032, v122
	v_add_f32_e32 v51, v51, v82
	v_add_f32_e32 v161, v220, v161
	v_mul_f32_e32 v220, 0xbf6f5d39, v131
	v_fmac_f32_e32 v123, 0xbeb58ec6, v32
	v_mov_b32_e32 v201, v124
	v_add_f32_e32 v119, v120, v119
	v_fma_f32 v120, v34, s14, -v204
	v_mul_f32_e32 v205, 0xbf7e222b, v128
	v_add_f32_e32 v51, v51, v83
	v_fma_f32 v221, v50, s17, -v220
	v_add_f32_e32 v123, v29, v123
	v_fmac_f32_e32 v201, 0xbf3f9e67, v33
	v_add_f32_e32 v119, v120, v119
	v_fma_f32 v120, v48, s16, -v205
	v_mul_f32_e32 v131, 0x3e750f2a, v131
	v_add_f32_e32 v51, v51, v84
	v_add_f32_e32 v161, v221, v161
	v_mul_f32_e32 v221, 0x3f7e222b, v141
	v_add_f32_e32 v123, v201, v123
	v_mul_f32_e32 v201, 0x3eedf032, v127
	v_add_f32_e32 v119, v120, v119
	v_fma_f32 v120, v50, s18, -v131
	v_mul_f32_e32 v141, 0x3f52af12, v141
	v_add_f32_e32 v51, v51, v85
	v_mul_f32_e32 v169, 0x3df6dbef, v32
	v_mov_b32_e32 v127, v201
	v_add_f32_e32 v119, v120, v119
	v_fma_f32 v120, v112, s15, -v141
	v_add_f32_e32 v51, v51, v86
	v_mul_f32_e32 v175, 0xbf788fa5, v33
	v_fmac_f32_e32 v127, 0x3f62ad3f, v35
	v_mul_f32_e32 v133, 0xbf7e222b, v133
	v_add_f32_e32 v122, v120, v119
	v_add_f32_e32 v119, v151, v169
	;; [unrolled: 1-line block ×3, first 2 shown]
	v_mul_f32_e32 v181, 0xbeb58ec6, v35
	v_add_f32_e32 v123, v127, v123
	v_mov_b32_e32 v127, v133
	v_add_f32_e32 v119, v29, v119
	v_add_f32_e32 v120, v153, v175
	;; [unrolled: 1-line block ×3, first 2 shown]
	v_mul_f32_e32 v187, 0x3f62ad3f, v49
	v_fmac_f32_e32 v127, 0x3df6dbef, v49
	v_mul_f32_e32 v142, 0x3e750f2a, v142
	v_add_f32_e32 v119, v120, v119
	v_add_f32_e32 v120, v155, v181
	;; [unrolled: 1-line block ×4, first 2 shown]
	v_mul_f32_e32 v193, 0x3f116cb1, v111
	v_add_f32_e32 v123, v127, v123
	v_mov_b32_e32 v127, v142
	v_add_f32_e32 v119, v120, v119
	v_add_f32_e32 v120, v156, v187
	;; [unrolled: 1-line block ×3, first 2 shown]
	v_mul_f32_e32 v199, 0xbf3f9e67, v116
	v_fmac_f32_e32 v127, 0xbf788fa5, v111
	v_mul_f32_e32 v146, 0x3f52af12, v146
	v_add_f32_e32 v119, v120, v119
	v_add_f32_e32 v120, v157, v193
	;; [unrolled: 1-line block ×3, first 2 shown]
	v_mul_f32_e32 v168, 0x3df6dbef, v30
	v_add_f32_e32 v123, v127, v123
	v_mov_b32_e32 v127, v146
	v_add_f32_e32 v119, v120, v119
	v_add_f32_e32 v120, v158, v199
	;; [unrolled: 1-line block ×3, first 2 shown]
	v_mul_f32_e32 v174, 0xbf788fa5, v31
	v_fmac_f32_e32 v127, 0x3f116cb1, v116
	v_add_f32_e32 v120, v120, v119
	v_sub_f32_e32 v119, v168, v147
	v_add_f32_e32 v37, v44, v37
	v_mul_f32_e32 v180, 0xbeb58ec6, v34
	v_add_f32_e32 v123, v127, v123
	v_add_f32_e32 v119, v28, v119
	v_sub_f32_e32 v127, v174, v148
	v_add_f32_e32 v37, v37, v38
	v_mul_f32_e32 v186, 0x3f62ad3f, v48
	v_add_f32_e32 v119, v127, v119
	v_sub_f32_e32 v127, v180, v149
	v_add_f32_e32 v37, v37, v39
	v_mul_f32_e32 v192, 0x3f116cb1, v50
	;; [unrolled: 4-line block ×5, first 2 shown]
	v_add_f32_e32 v119, v127, v119
	v_add_f32_e32 v127, v136, v167
	;; [unrolled: 1-line block ×3, first 2 shown]
	v_mul_f32_e32 v179, 0xbf788fa5, v35
	v_add_f32_e32 v127, v29, v127
	v_add_f32_e32 v128, v138, v173
	v_add_f32_e32 v51, v37, v47
	v_fma_f32 v37, v32, s18, -v210
	v_mul_f32_e32 v185, 0xbf3f9e67, v49
	v_add_f32_e32 v127, v128, v127
	v_add_f32_e32 v128, v140, v179
	v_add_f32_e32 v37, v29, v37
	v_fma_f32 v38, v33, s14, -v211
	;; [unrolled: 5-line block ×5, first 2 shown]
	v_mul_f32_e32 v172, 0xbeb58ec6, v31
	v_add_f32_e32 v128, v128, v127
	v_sub_f32_e32 v127, v166, v130
	v_add_f32_e32 v37, v38, v37
	v_fma_f32 v38, v116, s16, -v215
	v_fmac_f32_e32 v216, 0xbf788fa5, v30
	v_fma_f32 v32, v32, s17, -v200
	v_fmac_f32_e32 v202, 0xbeb58ec6, v30
	v_mul_f32_e32 v178, 0xbf788fa5, v34
	v_add_f32_e32 v127, v28, v127
	v_sub_f32_e32 v130, v172, v132
	v_add_f32_e32 v38, v38, v37
	v_add_f32_e32 v37, v28, v216
	v_fmac_f32_e32 v217, 0x3f62ad3f, v31
	v_add_f32_e32 v29, v29, v32
	v_fma_f32 v32, v33, s19, -v124
	v_add_f32_e32 v28, v28, v202
	v_fmac_f32_e32 v203, 0xbf3f9e67, v31
	v_mul_f32_e32 v184, 0xbf3f9e67, v48
	v_add_f32_e32 v127, v130, v127
	v_sub_f32_e32 v130, v178, v134
	v_add_f32_e32 v37, v217, v37
	v_fmac_f32_e32 v218, 0xbf3f9e67, v34
	v_add_f32_e32 v29, v32, v29
	v_fma_f32 v32, v35, s14, -v201
	v_add_f32_e32 v28, v203, v28
	v_fmac_f32_e32 v204, 0x3f62ad3f, v34
	v_mul_f32_e32 v190, 0x3df6dbef, v50
	v_add_f32_e32 v127, v130, v127
	v_sub_f32_e32 v130, v184, v135
	v_add_f32_e32 v37, v218, v37
	v_fmac_f32_e32 v219, 0x3f116cb1, v48
	v_add_f32_e32 v29, v32, v29
	v_fma_f32 v32, v49, s16, -v133
	v_add_f32_e32 v28, v204, v28
	v_fmac_f32_e32 v205, 0x3df6dbef, v48
	v_mul_u32_u24_e32 v30, 0x4e, v96
	v_mul_f32_e32 v196, 0x3f62ad3f, v112
	v_add_f32_e32 v127, v130, v127
	v_sub_f32_e32 v130, v190, v137
	v_add_f32_e32 v37, v219, v37
	v_fmac_f32_e32 v220, 0xbeb58ec6, v50
	v_add_f32_e32 v29, v32, v29
	v_fma_f32 v32, v111, s18, -v142
	v_add_f32_e32 v28, v205, v28
	v_fmac_f32_e32 v131, 0xbf788fa5, v50
	v_add_u32_e32 v30, v30, v97
	v_fma_f32 v222, v112, s16, -v221
	v_add_f32_e32 v127, v130, v127
	v_sub_f32_e32 v130, v196, v139
	v_add_f32_e32 v37, v220, v37
	v_fmac_f32_e32 v221, 0x3df6dbef, v112
	v_add_f32_e32 v29, v32, v29
	v_fma_f32 v32, v116, s15, -v146
	v_add_f32_e32 v28, v131, v28
	v_fmac_f32_e32 v141, 0x3f116cb1, v112
	v_lshl_add_u32 v30, v30, 3, v95
	v_add_f32_e32 v161, v222, v161
	v_add_f32_e32 v127, v130, v127
	;; [unrolled: 1-line block ×5, first 2 shown]
	ds_write2_b64 v30, v[51:52], v[113:114] offset1:6
	ds_write2_b64 v30, v[127:128], v[119:120] offset0:12 offset1:18
	ds_write2_b64 v30, v[122:123], v[163:164] offset0:24 offset1:30
	;; [unrolled: 1-line block ×5, first 2 shown]
	ds_write_b64 v30, v[87:88] offset:576
.LBB0_9:
	s_or_b64 exec, exec, s[2:3]
	v_lshlrev_b32_e32 v46, 5, v93
	s_waitcnt lgkmcnt(0)
	s_barrier
	global_load_dwordx4 v[32:35], v46, s[10:11] offset:608
	global_load_dwordx4 v[28:31], v46, s[10:11] offset:624
	v_add_u32_e32 v48, 0x800, v94
	ds_read2_b64 v[38:41], v94 offset1:78
	ds_read2_b64 v[42:45], v94 offset0:156 offset1:234
	v_add_u32_e32 v37, 0xc00, v94
	v_add_u32_e32 v49, 0x1000, v94
	ds_read2_b64 v[50:53], v48 offset0:56 offset1:134
	ds_read2_b64 v[77:80], v37 offset0:84 offset1:162
	;; [unrolled: 1-line block ×3, first 2 shown]
	v_mov_b32_e32 v47, s11
	v_add_co_u32_e64 v85, s[2:3], s10, v46
	v_addc_co_u32_e64 v86, s[2:3], 0, v47, s[2:3]
	s_waitcnt vmcnt(0) lgkmcnt(0)
	s_barrier
	s_movk_i32 s10, 0x1000
	v_lshl_add_u32 v101, v106, 3, v101
	v_mul_f32_e32 v46, v43, v33
	v_mul_f32_e32 v47, v51, v35
	;; [unrolled: 1-line block ×9, first 2 shown]
	v_fma_f32 v42, v42, v32, -v46
	v_fma_f32 v47, v50, v34, -v47
	;; [unrolled: 1-line block ×4, first 2 shown]
	v_mul_f32_e32 v114, v44, v33
	v_mul_f32_e32 v118, v79, v29
	;; [unrolled: 1-line block ×4, first 2 shown]
	v_fmac_f32_e32 v107, v43, v32
	v_fmac_f32_e32 v108, v51, v34
	;; [unrolled: 1-line block ×4, first 2 shown]
	v_fma_f32 v82, v44, v32, -v113
	v_add_f32_e32 v44, v47, v77
	v_add_f32_e32 v51, v42, v50
	v_mul_f32_e32 v115, v53, v35
	v_mul_f32_e32 v116, v52, v35
	;; [unrolled: 1-line block ×3, first 2 shown]
	v_fmac_f32_e32 v114, v45, v32
	v_fmac_f32_e32 v118, v80, v28
	v_fma_f32 v80, v83, v30, -v119
	v_fmac_f32_e32 v120, v84, v30
	v_add_f32_e32 v43, v38, v42
	v_sub_f32_e32 v45, v42, v47
	v_sub_f32_e32 v46, v50, v77
	v_sub_f32_e32 v78, v47, v42
	v_add_f32_e32 v81, v39, v107
	v_add_f32_e32 v83, v108, v110
	v_sub_f32_e32 v84, v42, v50
	v_fma_f32 v42, -0.5, v44, v38
	v_fma_f32 v38, -0.5, v51, v38
	v_fma_f32 v109, v52, v34, -v115
	v_fmac_f32_e32 v116, v53, v34
	v_fma_f32 v111, v79, v28, -v117
	v_sub_f32_e32 v52, v107, v112
	v_sub_f32_e32 v53, v108, v110
	;; [unrolled: 1-line block ×3, first 2 shown]
	v_add_f32_e32 v113, v43, v47
	v_add_f32_e32 v115, v45, v46
	;; [unrolled: 1-line block ×3, first 2 shown]
	v_fma_f32 v43, -0.5, v83, v39
	v_mov_b32_e32 v44, v42
	v_mov_b32_e32 v46, v38
	v_add_f32_e32 v78, v78, v79
	v_fmac_f32_e32 v42, 0xbf737871, v52
	v_fmac_f32_e32 v38, 0x3f737871, v53
	v_add_f32_e32 v79, v45, v110
	v_mov_b32_e32 v45, v43
	v_fmac_f32_e32 v44, 0x3f737871, v52
	v_fmac_f32_e32 v46, 0xbf737871, v53
	v_fmac_f32_e32 v42, 0xbf167918, v53
	v_fmac_f32_e32 v38, 0xbf167918, v52
	v_fmac_f32_e32 v44, 0x3f167918, v53
	v_fmac_f32_e32 v46, 0x3f167918, v52
	v_fmac_f32_e32 v45, 0xbf737871, v84
	v_sub_f32_e32 v52, v47, v77
	v_sub_f32_e32 v47, v107, v108
	;; [unrolled: 1-line block ×3, first 2 shown]
	v_fmac_f32_e32 v43, 0x3f737871, v84
	v_fmac_f32_e32 v45, 0xbf167918, v52
	v_add_f32_e32 v47, v47, v53
	v_fmac_f32_e32 v43, 0x3f167918, v52
	v_fmac_f32_e32 v45, 0x3e9e377a, v47
	;; [unrolled: 1-line block ×3, first 2 shown]
	v_add_f32_e32 v47, v107, v112
	v_fma_f32 v39, -0.5, v47, v39
	v_mov_b32_e32 v47, v39
	v_add_f32_e32 v51, v113, v77
	v_fmac_f32_e32 v47, 0x3f737871, v52
	v_sub_f32_e32 v53, v108, v107
	v_sub_f32_e32 v77, v110, v112
	v_fmac_f32_e32 v39, 0xbf737871, v52
	v_fmac_f32_e32 v47, 0xbf167918, v84
	v_add_f32_e32 v53, v53, v77
	v_fmac_f32_e32 v39, 0x3f167918, v84
	v_fmac_f32_e32 v47, 0x3e9e377a, v53
	;; [unrolled: 1-line block ×3, first 2 shown]
	v_add_f32_e32 v53, v109, v111
	v_fma_f32 v77, -0.5, v53, v40
	v_add_f32_e32 v50, v51, v50
	v_add_f32_e32 v51, v79, v112
	v_sub_f32_e32 v53, v114, v120
	v_mov_b32_e32 v79, v77
	v_fmac_f32_e32 v38, 0x3e9e377a, v78
	v_fmac_f32_e32 v46, 0x3e9e377a, v78
	;; [unrolled: 1-line block ×3, first 2 shown]
	v_sub_f32_e32 v78, v116, v118
	v_sub_f32_e32 v81, v82, v109
	;; [unrolled: 1-line block ×3, first 2 shown]
	v_fmac_f32_e32 v77, 0xbf737871, v53
	v_fmac_f32_e32 v79, 0x3f167918, v78
	v_add_f32_e32 v81, v81, v83
	v_fmac_f32_e32 v77, 0xbf167918, v78
	v_fmac_f32_e32 v79, 0x3e9e377a, v81
	;; [unrolled: 1-line block ×3, first 2 shown]
	v_add_f32_e32 v81, v82, v80
	v_add_f32_e32 v52, v40, v82
	v_fma_f32 v40, -0.5, v81, v40
	v_mov_b32_e32 v81, v40
	v_add_f32_e32 v52, v52, v109
	v_fmac_f32_e32 v81, 0xbf737871, v78
	v_sub_f32_e32 v83, v109, v82
	v_sub_f32_e32 v84, v111, v80
	v_fmac_f32_e32 v40, 0x3f737871, v78
	v_add_f32_e32 v78, v116, v118
	v_add_f32_e32 v52, v52, v111
	v_fmac_f32_e32 v81, 0x3f167918, v53
	v_add_f32_e32 v83, v83, v84
	v_fmac_f32_e32 v40, 0xbf167918, v53
	v_fma_f32 v78, -0.5, v78, v41
	v_add_f32_e32 v52, v52, v80
	v_fmac_f32_e32 v81, 0x3e9e377a, v83
	v_fmac_f32_e32 v40, 0x3e9e377a, v83
	v_sub_f32_e32 v83, v82, v80
	v_mov_b32_e32 v80, v78
	v_fmac_f32_e32 v80, 0xbf737871, v83
	v_sub_f32_e32 v84, v109, v111
	v_sub_f32_e32 v82, v114, v116
	;; [unrolled: 1-line block ×3, first 2 shown]
	v_fmac_f32_e32 v78, 0x3f737871, v83
	v_fmac_f32_e32 v80, 0xbf167918, v84
	v_add_f32_e32 v82, v82, v107
	v_fmac_f32_e32 v78, 0x3f167918, v84
	v_fmac_f32_e32 v80, 0x3e9e377a, v82
	v_fmac_f32_e32 v78, 0x3e9e377a, v82
	v_add_f32_e32 v82, v114, v120
	v_add_f32_e32 v53, v41, v114
	v_fmac_f32_e32 v41, -0.5, v82
	v_mov_b32_e32 v82, v41
	v_add_f32_e32 v53, v53, v116
	v_fmac_f32_e32 v82, 0x3f737871, v84
	v_sub_f32_e32 v107, v116, v114
	v_sub_f32_e32 v108, v118, v120
	v_fmac_f32_e32 v41, 0xbf737871, v84
	v_fmac_f32_e32 v44, 0x3e9e377a, v115
	v_add_f32_e32 v53, v53, v118
	v_fmac_f32_e32 v82, 0xbf167918, v83
	v_add_f32_e32 v107, v107, v108
	v_fmac_f32_e32 v41, 0x3f167918, v83
	v_fmac_f32_e32 v42, 0x3e9e377a, v115
	v_add_f32_e32 v53, v53, v120
	v_fmac_f32_e32 v82, 0x3e9e377a, v107
	v_fmac_f32_e32 v41, 0x3e9e377a, v107
	ds_write2_b64 v94, v[50:51], v[44:45] offset1:78
	ds_write2_b64 v94, v[46:47], v[38:39] offset0:156 offset1:234
	ds_write2_b64 v48, v[42:43], v[52:53] offset0:56 offset1:134
	ds_write2_b64 v37, v[79:80], v[81:82] offset0:84 offset1:162
	ds_write2_b64 v49, v[40:41], v[77:78] offset0:112 offset1:190
	v_mul_i32_i24_e32 v38, 0xffffffe8, v93
	v_mul_hi_i32_i24_e32 v39, 0xffffffe8, v93
	v_add_co_u32_e64 v38, s[2:3], v85, v38
	v_addc_co_u32_e64 v39, s[2:3], v86, v39, s[2:3]
	s_waitcnt lgkmcnt(0)
	s_barrier
	global_load_dwordx2 v[77:78], v[38:39], off offset:3104
	global_load_dwordx2 v[79:80], v[38:39], off offset:3728
	v_add_co_u32_e64 v38, s[2:3], s10, v38
	v_addc_co_u32_e64 v39, s[2:3], 0, v39, s[2:3]
	global_load_dwordx2 v[81:82], v[38:39], off offset:256
	global_load_dwordx2 v[83:84], v[38:39], off offset:880
	;; [unrolled: 1-line block ×3, first 2 shown]
	v_lshlrev_b32_e32 v38, 3, v93
	v_mov_b32_e32 v39, s9
	v_add_co_u32_e64 v114, s[2:3], s8, v38
	v_addc_co_u32_e64 v115, s[2:3], 0, v39, s[2:3]
	ds_read2_b64 v[38:41], v48 offset0:56 offset1:134
	ds_read2_b64 v[42:45], v94 offset1:78
	ds_read2_b64 v[50:53], v37 offset0:84 offset1:162
	ds_read2_b64 v[106:109], v94 offset0:156 offset1:234
	;; [unrolled: 1-line block ×3, first 2 shown]
	s_movk_i32 s8, 0x1860
	s_waitcnt vmcnt(4) lgkmcnt(4)
	v_mul_f32_e32 v46, v41, v78
	v_fma_f32 v46, v40, v77, -v46
	v_mul_f32_e32 v47, v40, v78
	s_waitcnt vmcnt(3) lgkmcnt(2)
	v_mul_f32_e32 v40, v51, v80
	v_fma_f32 v116, v50, v79, -v40
	v_mul_f32_e32 v50, v50, v80
	s_waitcnt vmcnt(2)
	v_mul_f32_e32 v40, v53, v82
	v_fmac_f32_e32 v50, v51, v79
	v_fma_f32 v51, v52, v81, -v40
	v_mul_f32_e32 v52, v52, v82
	s_waitcnt vmcnt(1) lgkmcnt(0)
	v_mul_f32_e32 v40, v111, v84
	v_fmac_f32_e32 v47, v41, v77
	v_fmac_f32_e32 v52, v53, v81
	v_fma_f32 v117, v110, v83, -v40
	v_mul_f32_e32 v110, v110, v84
	s_waitcnt vmcnt(0)
	v_mul_f32_e32 v40, v113, v86
	v_fmac_f32_e32 v110, v111, v83
	v_fma_f32 v111, v112, v85, -v40
	v_mul_f32_e32 v112, v112, v86
	v_sub_f32_e32 v41, v43, v47
	v_sub_f32_e32 v47, v45, v50
	;; [unrolled: 1-line block ×4, first 2 shown]
	v_fmac_f32_e32 v112, v113, v85
	v_sub_f32_e32 v40, v42, v46
	v_sub_f32_e32 v46, v44, v116
	v_fma_f32 v52, v106, 2.0, -v50
	v_fma_f32 v53, v107, 2.0, -v51
	v_sub_f32_e32 v106, v108, v117
	v_sub_f32_e32 v107, v109, v110
	;; [unrolled: 1-line block ×3, first 2 shown]
	v_fma_f32 v42, v42, 2.0, -v40
	v_fma_f32 v43, v43, 2.0, -v41
	;; [unrolled: 1-line block ×6, first 2 shown]
	v_sub_f32_e32 v111, v39, v112
	v_fma_f32 v38, v38, 2.0, -v110
	ds_write_b64 v94, v[40:41] offset:3120
	ds_write2_b64 v94, v[42:43], v[44:45] offset1:78
	ds_write_b64 v94, v[46:47] offset:3744
	ds_write2_b64 v94, v[52:53], v[108:109] offset0:156 offset1:234
	v_add_u32_e32 v40, 0x1000, v101
	v_fma_f32 v39, v39, 2.0, -v111
	ds_write2_b64 v40, v[50:51], v[106:107] offset0:34 offset1:112
	ds_write_b64 v94, v[38:39] offset:2496
	ds_write_b64 v101, v[110:111] offset:5616
	v_add_co_u32_e64 v38, s[2:3], s10, v114
	v_addc_co_u32_e64 v39, s[2:3], 0, v115, s[2:3]
	s_waitcnt lgkmcnt(0)
	s_barrier
	global_load_dwordx2 v[46:47], v[38:39], off offset:2144
	v_add_co_u32_e64 v38, s[2:3], s8, v114
	v_addc_co_u32_e64 v39, s[2:3], 0, v115, s[2:3]
	global_load_dwordx2 v[50:51], v[38:39], off offset:3120
	global_load_dwordx2 v[52:53], v[38:39], off offset:624
	s_movk_i32 s2, 0x2000
	v_add_co_u32_e64 v40, s[2:3], s2, v114
	v_addc_co_u32_e64 v41, s[2:3], 0, v115, s[2:3]
	global_load_dwordx2 v[106:107], v[40:41], off offset:2416
	global_load_dwordx2 v[108:109], v[38:39], off offset:3744
	;; [unrolled: 1-line block ×7, first 2 shown]
	ds_read2_b64 v[38:41], v94 offset1:78
	ds_read2_b64 v[42:45], v48 offset0:56 offset1:134
	s_waitcnt vmcnt(9) lgkmcnt(1)
	v_mul_f32_e32 v120, v39, v47
	v_fma_f32 v120, v38, v46, -v120
	v_mul_f32_e32 v121, v38, v47
	v_fmac_f32_e32 v121, v39, v46
	s_waitcnt vmcnt(8) lgkmcnt(0)
	v_mul_f32_e32 v38, v45, v51
	v_fma_f32 v122, v44, v50, -v38
	v_mul_f32_e32 v123, v44, v51
	s_waitcnt vmcnt(7)
	v_mul_f32_e32 v38, v41, v53
	v_mul_f32_e32 v39, v40, v53
	v_fmac_f32_e32 v123, v45, v50
	v_fma_f32 v38, v40, v52, -v38
	ds_read2_b64 v[44:47], v37 offset0:84 offset1:162
	v_fmac_f32_e32 v39, v41, v52
	ds_write2_b64 v94, v[120:121], v[38:39] offset1:78
	ds_read2_b64 v[38:41], v94 offset0:156 offset1:234
	s_waitcnt vmcnt(5) lgkmcnt(2)
	v_mul_f32_e32 v50, v45, v109
	v_fma_f32 v50, v44, v108, -v50
	v_mul_f32_e32 v51, v44, v109
	s_waitcnt vmcnt(4) lgkmcnt(0)
	v_mul_f32_e32 v44, v39, v111
	v_mul_f32_e32 v53, v38, v111
	v_fma_f32 v52, v38, v110, -v44
	v_fmac_f32_e32 v53, v39, v110
	v_mul_f32_e32 v38, v47, v107
	v_mul_f32_e32 v39, v46, v107
	v_fmac_f32_e32 v51, v45, v108
	v_fma_f32 v38, v46, v106, -v38
	v_fmac_f32_e32 v39, v47, v106
	ds_read2_b64 v[44:47], v49 offset0:112 offset1:190
	ds_write2_b64 v37, v[50:51], v[38:39] offset0:84 offset1:162
	s_waitcnt vmcnt(3)
	v_mul_f32_e32 v38, v41, v113
	v_mul_f32_e32 v39, v40, v113
	v_fma_f32 v38, v40, v112, -v38
	v_fmac_f32_e32 v39, v41, v112
	s_waitcnt vmcnt(1)
	v_mul_f32_e32 v40, v43, v117
	v_mul_f32_e32 v41, v42, v117
	v_fma_f32 v40, v42, v116, -v40
	v_fmac_f32_e32 v41, v43, v116
	ds_write2_b64 v94, v[52:53], v[38:39] offset0:156 offset1:234
	s_waitcnt lgkmcnt(2)
	v_mul_f32_e32 v38, v45, v115
	v_mul_f32_e32 v39, v44, v115
	ds_write2_b64 v48, v[40:41], v[122:123] offset0:56 offset1:134
	s_waitcnt vmcnt(0)
	v_mul_f32_e32 v40, v47, v119
	v_mul_f32_e32 v41, v46, v119
	v_fma_f32 v38, v44, v114, -v38
	v_fmac_f32_e32 v39, v45, v114
	v_fma_f32 v40, v46, v118, -v40
	v_fmac_f32_e32 v41, v47, v118
	ds_write2_b64 v49, v[38:39], v[40:41] offset0:112 offset1:190
	s_waitcnt lgkmcnt(0)
	s_barrier
	ds_read2_b64 v[38:41], v94 offset1:78
	ds_read2_b64 v[42:45], v48 offset0:56 offset1:134
	ds_read2_b64 v[50:53], v37 offset0:84 offset1:162
	;; [unrolled: 1-line block ×4, first 2 shown]
	s_waitcnt lgkmcnt(0)
	v_sub_f32_e32 v116, v38, v44
	v_sub_f32_e32 v117, v39, v45
	;; [unrolled: 1-line block ×3, first 2 shown]
	v_fma_f32 v114, v38, 2.0, -v116
	v_fma_f32 v115, v39, 2.0, -v117
	v_sub_f32_e32 v121, v41, v51
	v_fma_f32 v118, v40, 2.0, -v120
	v_sub_f32_e32 v39, v106, v52
	v_sub_f32_e32 v40, v107, v53
	;; [unrolled: 1-line block ×6, first 2 shown]
	v_fma_f32 v119, v41, 2.0, -v121
	v_fma_f32 v37, v106, 2.0, -v39
	;; [unrolled: 1-line block ×7, first 2 shown]
	s_barrier
	ds_write_b128 v54, v[114:117]
	ds_write_b128 v55, v[118:121]
	;; [unrolled: 1-line block ×5, first 2 shown]
	v_add_u32_e32 v40, 0x400, v94
	s_waitcnt lgkmcnt(0)
	s_barrier
	ds_read2_b64 v[36:39], v94 offset1:78
	ds_read2_b64 v[40:43], v40 offset0:28 offset1:132
	ds_read2_b64 v[52:55], v49 offset0:8 offset1:86
	;; [unrolled: 1-line block ×3, first 2 shown]
	ds_read_b64 v[44:45], v94 offset:5408
	s_and_saveexec_b64 s[2:3], vcc
	s_cbranch_execz .LBB0_11
; %bb.10:
	ds_read_b64 v[46:47], v94 offset:1872
	ds_read_b64 v[91:92], v94 offset:3952
	;; [unrolled: 1-line block ×3, first 2 shown]
.LBB0_11:
	s_or_b64 exec, exec, s[2:3]
	s_waitcnt lgkmcnt(3)
	v_mul_f32_e32 v99, v1, v43
	v_fmac_f32_e32 v99, v0, v42
	v_mul_f32_e32 v42, v1, v42
	v_fma_f32 v42, v0, v43, -v42
	s_waitcnt lgkmcnt(2)
	v_mul_f32_e32 v43, v3, v53
	v_fmac_f32_e32 v43, v2, v52
	v_mul_f32_e32 v52, v3, v52
	v_fma_f32 v52, v2, v53, -v52
	s_waitcnt lgkmcnt(1)
	v_mul_f32_e32 v53, v1, v49
	v_fmac_f32_e32 v53, v0, v48
	v_mul_f32_e32 v48, v1, v48
	s_waitcnt lgkmcnt(0)
	v_mul_f32_e32 v108, v3, v45
	v_fma_f32 v100, v0, v49, -v48
	v_mul_f32_e32 v106, v3, v55
	v_mul_f32_e32 v48, v3, v54
	v_fmac_f32_e32 v108, v2, v44
	v_mul_f32_e32 v44, v3, v44
	v_fmac_f32_e32 v106, v2, v54
	v_fma_f32 v54, v2, v55, -v48
	v_mul_f32_e32 v55, v1, v51
	v_mul_f32_e32 v48, v1, v50
	v_fma_f32 v44, v2, v45, -v44
	v_mul_f32_e32 v45, v1, v92
	v_mul_f32_e32 v1, v1, v91
	v_fmac_f32_e32 v55, v0, v50
	v_fma_f32 v107, v0, v51, -v48
	v_fmac_f32_e32 v45, v0, v91
	v_fma_f32 v91, v0, v92, -v1
	v_mul_f32_e32 v92, v3, v90
	v_mul_f32_e32 v0, v3, v89
	v_add_f32_e32 v3, v42, v52
	v_add_f32_e32 v1, v99, v43
	v_fma_f32 v49, -0.5, v3, v37
	v_fmac_f32_e32 v92, v2, v89
	v_fma_f32 v89, v2, v90, -v0
	v_add_f32_e32 v0, v36, v99
	v_fma_f32 v48, -0.5, v1, v36
	v_sub_f32_e32 v36, v99, v43
	v_mov_b32_e32 v3, v49
	v_fmac_f32_e32 v3, 0x3f5db3d7, v36
	v_fmac_f32_e32 v49, 0xbf5db3d7, v36
	v_add_f32_e32 v36, v38, v53
	v_add_f32_e32 v50, v36, v106
	;; [unrolled: 1-line block ×3, first 2 shown]
	v_sub_f32_e32 v1, v42, v52
	v_mov_b32_e32 v2, v48
	v_fma_f32 v38, -0.5, v36, v38
	v_fmac_f32_e32 v2, 0xbf5db3d7, v1
	v_fmac_f32_e32 v48, 0x3f5db3d7, v1
	v_add_f32_e32 v1, v37, v42
	v_sub_f32_e32 v37, v100, v54
	v_mov_b32_e32 v36, v38
	v_fmac_f32_e32 v36, 0xbf5db3d7, v37
	v_fmac_f32_e32 v38, 0x3f5db3d7, v37
	v_add_f32_e32 v37, v39, v100
	v_add_f32_e32 v51, v37, v54
	v_add_f32_e32 v37, v100, v54
	v_fmac_f32_e32 v39, -0.5, v37
	v_sub_f32_e32 v42, v53, v106
	v_mov_b32_e32 v37, v39
	v_fmac_f32_e32 v37, 0x3f5db3d7, v42
	v_fmac_f32_e32 v39, 0xbf5db3d7, v42
	v_add_f32_e32 v42, v40, v55
	v_add_f32_e32 v1, v1, v52
	;; [unrolled: 1-line block ×4, first 2 shown]
	v_fma_f32 v40, -0.5, v42, v40
	v_sub_f32_e32 v42, v107, v44
	v_mov_b32_e32 v54, v40
	v_fmac_f32_e32 v54, 0xbf5db3d7, v42
	v_fmac_f32_e32 v40, 0x3f5db3d7, v42
	v_add_f32_e32 v42, v41, v107
	v_add_f32_e32 v53, v42, v44
	;; [unrolled: 1-line block ×3, first 2 shown]
	v_fmac_f32_e32 v41, -0.5, v42
	v_add_f32_e32 v0, v0, v43
	v_sub_f32_e32 v42, v55, v108
	v_mov_b32_e32 v55, v41
	v_add_f32_e32 v43, v45, v92
	v_fmac_f32_e32 v55, 0x3f5db3d7, v42
	v_fmac_f32_e32 v41, 0xbf5db3d7, v42
	v_add_f32_e32 v42, v46, v45
	v_fmac_f32_e32 v46, -0.5, v43
	v_sub_f32_e32 v43, v91, v89
	v_mov_b32_e32 v44, v46
	v_fmac_f32_e32 v44, 0xbf5db3d7, v43
	v_fmac_f32_e32 v46, 0x3f5db3d7, v43
	v_add_f32_e32 v43, v47, v91
	v_add_f32_e32 v43, v43, v89
	;; [unrolled: 1-line block ×3, first 2 shown]
	v_fmac_f32_e32 v47, -0.5, v89
	v_sub_f32_e32 v89, v45, v92
	v_mov_b32_e32 v45, v47
	v_add_f32_e32 v42, v42, v92
	v_fmac_f32_e32 v45, 0x3f5db3d7, v89
	v_fmac_f32_e32 v47, 0xbf5db3d7, v89
	s_barrier
	ds_write2_b64 v102, v[0:1], v[2:3] offset1:2
	ds_write_b64 v102, v[48:49] offset:32
	ds_write2_b64 v103, v[50:51], v[36:37] offset1:2
	ds_write_b64 v103, v[38:39] offset:32
	ds_write2_b64 v104, v[52:53], v[54:55] offset1:2
	ds_write_b64 v104, v[40:41] offset:32
	s_and_saveexec_b64 s[2:3], vcc
	s_cbranch_execz .LBB0_13
; %bb.12:
	v_mul_u32_u24_e32 v89, 6, v105
	v_or_b32_e32 v89, v89, v98
	v_lshl_add_u32 v89, v89, 3, v95
	ds_write2_b64 v89, v[42:43], v[44:45] offset1:2
	ds_write_b64 v89, v[46:47] offset:32
.LBB0_13:
	s_or_b64 exec, exec, s[2:3]
	s_waitcnt lgkmcnt(0)
	s_barrier
	s_and_saveexec_b64 s[2:3], s[0:1]
	s_cbranch_execz .LBB0_15
; %bb.14:
	v_add_u32_e32 v40, 0x800, v94
	ds_read2_b64 v[0:3], v94 offset1:60
	ds_read2_b64 v[48:51], v94 offset0:120 offset1:180
	v_add_u32_e32 v36, 0x400, v94
	ds_read2_b64 v[52:55], v40 offset0:104 offset1:164
	v_add_u32_e32 v40, 0xc00, v94
	v_add_u32_e32 v44, 0x1000, v94
	ds_read2_b64 v[36:39], v36 offset0:112 offset1:172
	ds_read2_b64 v[40:43], v40 offset0:96 offset1:156
	ds_read2_b64 v[44:47], v44 offset0:88 offset1:148
	ds_read_b64 v[87:88], v94 offset:5760
.LBB0_15:
	s_or_b64 exec, exec, s[2:3]
	v_add_u32_e32 v91, 0x4e0, v101
	v_add_u32_e32 v90, 0x750, v101
	;; [unrolled: 1-line block ×3, first 2 shown]
	s_waitcnt lgkmcnt(0)
	s_barrier
	s_and_saveexec_b64 s[2:3], s[0:1]
	s_cbranch_execz .LBB0_17
; %bb.16:
	v_mul_f32_e32 v98, v17, v3
	v_mul_f32_e32 v99, v27, v88
	v_fmac_f32_e32 v98, v16, v2
	v_fmac_f32_e32 v99, v26, v87
	v_sub_f32_e32 v92, v98, v99
	v_mul_f32_e32 v27, v27, v87
	v_mul_f32_e32 v2, v17, v2
	;; [unrolled: 1-line block ×3, first 2 shown]
	v_fma_f32 v26, v26, v88, -v27
	v_fma_f32 v27, v16, v3, -v2
	v_add_f32_e32 v16, v26, v27
	v_mov_b32_e32 v2, v100
	v_mul_f32_e32 v87, v19, v49
	v_mul_f32_e32 v88, v25, v47
	v_fmac_f32_e32 v2, 0xbf3f9e67, v16
	v_fmac_f32_e32 v87, v18, v48
	;; [unrolled: 1-line block ×3, first 2 shown]
	v_add_f32_e32 v3, v1, v2
	v_sub_f32_e32 v2, v87, v88
	v_mul_f32_e32 v25, v25, v46
	v_mul_f32_e32 v19, v19, v48
	;; [unrolled: 1-line block ×3, first 2 shown]
	v_fma_f32 v24, v24, v47, -v25
	v_fma_f32 v18, v18, v49, -v19
	v_add_f32_e32 v19, v24, v18
	v_mov_b32_e32 v25, v17
	v_mul_f32_e32 v46, v13, v51
	v_mul_f32_e32 v47, v23, v45
	v_fmac_f32_e32 v25, 0x3df6dbef, v19
	v_fmac_f32_e32 v46, v12, v50
	;; [unrolled: 1-line block ×3, first 2 shown]
	v_add_f32_e32 v25, v25, v3
	v_sub_f32_e32 v3, v46, v47
	v_mul_f32_e32 v23, v23, v44
	v_mul_f32_e32 v13, v13, v50
	;; [unrolled: 1-line block ×3, first 2 shown]
	v_fma_f32 v22, v22, v45, -v23
	v_fma_f32 v23, v12, v51, -v13
	v_add_f32_e32 v44, v22, v23
	v_mov_b32_e32 v12, v48
	v_fmac_f32_e32 v12, 0x3f116cb1, v44
	v_add_f32_e32 v12, v12, v25
	v_mul_f32_e32 v25, v15, v37
	v_mul_f32_e32 v45, v21, v43
	v_fmac_f32_e32 v25, v14, v36
	v_fmac_f32_e32 v45, v20, v42
	v_sub_f32_e32 v49, v25, v45
	v_mul_f32_e32 v21, v21, v42
	v_mul_f32_e32 v15, v15, v36
	;; [unrolled: 1-line block ×3, first 2 shown]
	v_fma_f32 v20, v20, v43, -v21
	v_fma_f32 v21, v14, v37, -v15
	v_mul_f32_e32 v37, v5, v39
	v_mul_f32_e32 v42, v11, v41
	v_mul_f32_e32 v11, v11, v40
	v_add_f32_e32 v36, v20, v21
	v_mov_b32_e32 v14, v13
	v_fmac_f32_e32 v37, v4, v38
	v_fmac_f32_e32 v42, v10, v40
	v_fma_f32 v40, v10, v41, -v11
	v_mul_f32_e32 v5, v5, v38
	v_mul_f32_e32 v41, v7, v53
	;; [unrolled: 1-line block ×3, first 2 shown]
	v_fmac_f32_e32 v14, 0xbf788fa5, v36
	v_sub_f32_e32 v43, v37, v42
	v_fma_f32 v38, v4, v39, -v5
	v_fmac_f32_e32 v41, v6, v52
	v_fmac_f32_e32 v50, v8, v54
	v_mul_f32_e32 v5, v9, v54
	v_add_f32_e32 v12, v14, v12
	v_mul_f32_e32 v14, 0x3eedf032, v43
	v_sub_f32_e32 v51, v41, v50
	v_fma_f32 v54, v8, v55, -v5
	v_mul_f32_e32 v5, v7, v52
	v_add_f32_e32 v39, v40, v38
	v_mov_b32_e32 v4, v14
	v_mul_f32_e32 v10, 0xbf6f5d39, v51
	v_fma_f32 v52, v6, v53, -v5
	v_fmac_f32_e32 v4, 0x3f62ad3f, v39
	v_add_f32_e32 v53, v54, v52
	v_mov_b32_e32 v5, v10
	v_sub_f32_e32 v101, v27, v26
	s_mov_b32 s0, 0xbf3f9e67
	v_add_f32_e32 v4, v4, v12
	v_fmac_f32_e32 v5, 0xbeb58ec6, v53
	v_add_f32_e32 v55, v99, v98
	v_mul_f32_e32 v8, 0xbf29c268, v101
	v_sub_f32_e32 v103, v18, v24
	s_mov_b32 s1, 0x3df6dbef
	v_add_f32_e32 v5, v5, v4
	v_fma_f32 v4, v55, s0, -v8
	v_add_f32_e32 v102, v88, v87
	v_mul_f32_e32 v11, 0x3f7e222b, v103
	v_sub_f32_e32 v105, v23, v22
	s_mov_b32 s8, 0x3f116cb1
	v_add_f32_e32 v4, v0, v4
	v_fma_f32 v6, v102, s1, -v11
	;; [unrolled: 6-line block ×5, first 2 shown]
	v_add_f32_e32 v111, v50, v41
	v_mul_f32_e32 v113, 0xbf6f5d39, v112
	v_add_f32_e32 v4, v6, v4
	v_fma_f32 v6, v111, s11, -v113
	v_mul_f32_e32 v114, 0xbf788fa5, v16
	v_add_f32_e32 v4, v6, v4
	v_mov_b32_e32 v6, v114
	v_mul_f32_e32 v115, 0x3f62ad3f, v19
	v_fmac_f32_e32 v6, 0x3e750f2a, v92
	v_mov_b32_e32 v7, v115
	v_add_f32_e32 v6, v1, v6
	v_fmac_f32_e32 v7, 0xbeedf032, v2
	v_mul_f32_e32 v116, 0xbf3f9e67, v44
	v_add_f32_e32 v6, v7, v6
	v_mov_b32_e32 v7, v116
	v_fmac_f32_e32 v7, 0x3f29c268, v3
	v_mul_f32_e32 v117, 0x3f116cb1, v36
	v_add_f32_e32 v6, v7, v6
	v_mov_b32_e32 v7, v117
	;; [unrolled: 4-line block ×5, first 2 shown]
	v_mul_f32_e32 v121, 0x3eedf032, v103
	v_fmac_f32_e32 v6, 0xbf788fa5, v55
	v_mov_b32_e32 v9, v121
	v_add_f32_e32 v6, v0, v6
	v_fmac_f32_e32 v9, 0x3f62ad3f, v102
	v_mul_f32_e32 v122, 0xbf29c268, v105
	v_add_f32_e32 v6, v9, v6
	v_mov_b32_e32 v9, v122
	v_fmac_f32_e32 v9, 0xbf3f9e67, v104
	v_mul_f32_e32 v123, 0x3f52af12, v107
	v_add_f32_e32 v6, v9, v6
	v_mov_b32_e32 v9, v123
	v_fmac_f32_e32 v9, 0x3f116cb1, v106
	v_mul_f32_e32 v124, 0xbf6f5d39, v109
	v_add_f32_e32 v6, v9, v6
	v_mov_b32_e32 v9, v124
	v_fmac_f32_e32 v9, 0xbeb58ec6, v108
	v_mul_f32_e32 v125, 0x3f7e222b, v112
	v_add_f32_e32 v6, v9, v6
	v_mov_b32_e32 v9, v125
	v_fmac_f32_e32 v9, 0x3df6dbef, v111
	v_add_f32_e32 v6, v9, v6
	v_fma_f32 v9, v16, s0, -v100
	v_add_f32_e32 v9, v1, v9
	v_fma_f32 v17, v19, s1, -v17
	;; [unrolled: 2-line block ×4, first 2 shown]
	v_fmac_f32_e32 v8, 0xbf3f9e67, v55
	v_add_f32_e32 v9, v13, v9
	v_fma_f32 v13, v39, s10, -v14
	v_add_f32_e32 v8, v0, v8
	v_fmac_f32_e32 v11, 0x3df6dbef, v102
	v_add_f32_e32 v9, v13, v9
	v_fma_f32 v10, v53, s11, -v10
	v_add_f32_e32 v8, v11, v8
	v_fmac_f32_e32 v12, 0x3f116cb1, v104
	v_mul_f32_e32 v48, 0xbeb58ec6, v16
	v_add_f32_e32 v9, v10, v9
	v_add_f32_e32 v8, v12, v8
	v_fmac_f32_e32 v15, 0xbf788fa5, v106
	v_mov_b32_e32 v10, v48
	v_mul_f32_e32 v100, 0xbf3f9e67, v19
	v_add_f32_e32 v8, v15, v8
	v_fmac_f32_e32 v110, 0x3f62ad3f, v108
	v_fmac_f32_e32 v10, 0x3f6f5d39, v92
	v_mov_b32_e32 v11, v100
	v_add_f32_e32 v8, v110, v8
	v_add_f32_e32 v10, v1, v10
	v_fmac_f32_e32 v11, 0xbf29c268, v2
	v_mul_f32_e32 v110, 0x3f62ad3f, v44
	v_fmac_f32_e32 v113, 0xbeb58ec6, v111
	v_add_f32_e32 v10, v11, v10
	v_mov_b32_e32 v11, v110
	v_add_f32_e32 v8, v113, v8
	v_fmac_f32_e32 v11, 0xbeedf032, v3
	v_mul_f32_e32 v113, 0x3df6dbef, v36
	v_add_f32_e32 v10, v11, v10
	v_mov_b32_e32 v11, v113
	v_fmac_f32_e32 v11, 0x3f7e222b, v49
	v_mul_f32_e32 v126, 0xbf788fa5, v39
	v_add_f32_e32 v10, v11, v10
	v_mov_b32_e32 v11, v126
	v_fmac_f32_e32 v11, 0xbe750f2a, v43
	v_mul_f32_e32 v127, 0x3f116cb1, v53
	v_add_f32_e32 v10, v11, v10
	v_mov_b32_e32 v11, v127
	v_fmac_f32_e32 v11, 0xbf52af12, v51
	v_mul_f32_e32 v128, 0xbf6f5d39, v101
	v_add_f32_e32 v11, v11, v10
	v_mov_b32_e32 v10, v128
	v_mul_f32_e32 v129, 0x3f29c268, v103
	v_fmac_f32_e32 v10, 0xbeb58ec6, v55
	v_mov_b32_e32 v12, v129
	v_add_f32_e32 v10, v0, v10
	v_fmac_f32_e32 v12, 0xbf3f9e67, v102
	v_mul_f32_e32 v130, 0x3eedf032, v105
	v_add_f32_e32 v10, v12, v10
	v_mov_b32_e32 v12, v130
	v_fmac_f32_e32 v12, 0x3f62ad3f, v104
	v_mul_f32_e32 v131, 0xbf7e222b, v107
	v_add_f32_e32 v10, v12, v10
	v_mov_b32_e32 v12, v131
	v_fmac_f32_e32 v12, 0x3df6dbef, v106
	v_mul_f32_e32 v132, 0x3e750f2a, v109
	v_add_f32_e32 v10, v12, v10
	v_mov_b32_e32 v12, v132
	v_fmac_f32_e32 v12, 0xbf788fa5, v108
	v_mul_f32_e32 v133, 0x3f52af12, v112
	v_add_f32_e32 v10, v12, v10
	v_mov_b32_e32 v12, v133
	v_fmac_f32_e32 v12, 0x3f116cb1, v111
	v_mul_f32_e32 v134, 0x3df6dbef, v16
	v_add_f32_e32 v10, v12, v10
	v_mov_b32_e32 v12, v134
	v_mul_f32_e32 v135, 0xbf788fa5, v19
	v_fmac_f32_e32 v12, 0x3f7e222b, v92
	v_mov_b32_e32 v13, v135
	v_add_f32_e32 v12, v1, v12
	v_fmac_f32_e32 v13, 0x3e750f2a, v2
	v_mul_f32_e32 v136, 0xbeb58ec6, v44
	v_add_f32_e32 v12, v13, v12
	v_mov_b32_e32 v13, v136
	;; [unrolled: 24-line block ×5, first 2 shown]
	v_fmac_f32_e32 v17, 0xbf788fa5, v104
	v_mul_f32_e32 v155, 0x3f29c268, v107
	v_add_f32_e32 v14, v17, v14
	v_mov_b32_e32 v17, v155
	v_fmac_f32_e32 v17, 0xbf3f9e67, v106
	v_mul_f32_e32 v156, 0x3f7e222b, v109
	v_add_f32_e32 v14, v17, v14
	v_mov_b32_e32 v17, v156
	;; [unrolled: 4-line block ×3, first 2 shown]
	v_mul_f32_e32 v158, 0x3f62ad3f, v16
	v_fmac_f32_e32 v17, 0x3f62ad3f, v111
	v_mov_b32_e32 v16, v158
	v_mul_f32_e32 v159, 0x3f116cb1, v19
	v_add_f32_e32 v14, v17, v14
	v_fmac_f32_e32 v16, 0x3eedf032, v92
	v_mov_b32_e32 v17, v159
	v_add_f32_e32 v16, v1, v16
	v_fmac_f32_e32 v17, 0x3f52af12, v2
	v_mul_f32_e32 v44, 0x3df6dbef, v44
	v_add_f32_e32 v16, v17, v16
	v_mov_b32_e32 v17, v44
	v_fmac_f32_e32 v17, 0x3f7e222b, v3
	v_mul_f32_e32 v36, 0xbeb58ec6, v36
	v_add_f32_e32 v16, v17, v16
	v_mov_b32_e32 v17, v36
	;; [unrolled: 4-line block ×5, first 2 shown]
	v_mul_f32_e32 v103, 0xbf52af12, v103
	v_fmac_f32_e32 v16, 0x3f62ad3f, v55
	v_mov_b32_e32 v19, v103
	v_add_f32_e32 v16, v0, v16
	v_fmac_f32_e32 v19, 0x3f116cb1, v102
	v_mul_f32_e32 v105, 0xbf7e222b, v105
	v_add_f32_e32 v16, v19, v16
	v_mov_b32_e32 v19, v105
	v_fmac_f32_e32 v19, 0x3df6dbef, v104
	v_mul_f32_e32 v107, 0xbf6f5d39, v107
	v_add_f32_e32 v16, v19, v16
	v_mov_b32_e32 v19, v107
	;; [unrolled: 4-line block ×4, first 2 shown]
	v_fmac_f32_e32 v19, 0xbf788fa5, v111
	v_add_f32_e32 v16, v19, v16
	v_add_f32_e32 v19, v27, v1
	;; [unrolled: 1-line block ×9, first 2 shown]
	v_fmac_f32_e32 v114, 0xbe750f2a, v92
	v_add_f32_e32 v18, v20, v18
	v_add_f32_e32 v20, v1, v114
	v_fmac_f32_e32 v115, 0x3eedf032, v2
	v_add_f32_e32 v20, v115, v20
	v_fmac_f32_e32 v116, 0xbf29c268, v3
	;; [unrolled: 2-line block ×5, first 2 shown]
	v_add_f32_e32 v21, v119, v20
	v_fma_f32 v20, v55, s9, -v120
	v_add_f32_e32 v18, v22, v18
	v_add_f32_e32 v20, v0, v20
	v_fma_f32 v22, v102, s10, -v121
	v_add_f32_e32 v20, v22, v20
	v_fma_f32 v22, v104, s0, -v122
	v_add_f32_e32 v20, v22, v20
	v_fma_f32 v22, v106, s8, -v123
	v_add_f32_e32 v20, v22, v20
	v_fma_f32 v22, v108, s11, -v124
	v_add_f32_e32 v20, v22, v20
	v_fma_f32 v22, v111, s1, -v125
	v_fmac_f32_e32 v48, 0xbf6f5d39, v92
	v_add_f32_e32 v20, v22, v20
	v_add_f32_e32 v22, v1, v48
	v_fmac_f32_e32 v100, 0x3f29c268, v2
	v_add_f32_e32 v22, v100, v22
	v_fmac_f32_e32 v110, 0x3eedf032, v3
	;; [unrolled: 2-line block ×5, first 2 shown]
	v_add_f32_e32 v23, v127, v22
	v_fma_f32 v22, v55, s11, -v128
	v_add_f32_e32 v18, v24, v18
	v_add_f32_e32 v22, v0, v22
	v_fma_f32 v24, v102, s0, -v129
	v_add_f32_e32 v22, v24, v22
	v_fma_f32 v24, v104, s10, -v130
	;; [unrolled: 2-line block ×5, first 2 shown]
	v_fmac_f32_e32 v134, 0xbf7e222b, v92
	v_add_f32_e32 v22, v24, v22
	v_add_f32_e32 v24, v1, v134
	v_fmac_f32_e32 v135, 0xbe750f2a, v2
	v_add_f32_e32 v24, v135, v24
	v_fmac_f32_e32 v136, 0x3f6f5d39, v3
	v_add_f32_e32 v19, v26, v18
	v_add_f32_e32 v18, v0, v98
	;; [unrolled: 1-line block ×3, first 2 shown]
	v_fmac_f32_e32 v137, 0x3eedf032, v49
	v_add_f32_e32 v18, v87, v18
	v_add_f32_e32 v24, v137, v24
	v_fmac_f32_e32 v138, 0xbf52af12, v43
	v_add_f32_e32 v18, v46, v18
	v_add_f32_e32 v24, v138, v24
	;; [unrolled: 3-line block ×3, first 2 shown]
	v_fma_f32 v24, v55, s1, -v140
	v_add_f32_e32 v24, v0, v24
	v_fma_f32 v26, v102, s9, -v141
	v_add_f32_e32 v24, v26, v24
	;; [unrolled: 2-line block ×5, first 2 shown]
	v_fma_f32 v26, v111, s0, -v145
	v_fmac_f32_e32 v146, 0xbf52af12, v92
	v_add_f32_e32 v24, v26, v24
	v_add_f32_e32 v26, v1, v146
	v_fmac_f32_e32 v147, 0xbf6f5d39, v2
	v_add_f32_e32 v26, v147, v26
	v_fmac_f32_e32 v148, 0xbe750f2a, v3
	;; [unrolled: 2-line block ×5, first 2 shown]
	v_add_f32_e32 v27, v151, v26
	v_fma_f32 v26, v55, s8, -v152
	v_fmac_f32_e32 v159, 0xbf52af12, v2
	v_fma_f32 v2, v55, s10, -v101
	v_add_f32_e32 v18, v37, v18
	v_add_f32_e32 v26, v0, v26
	;; [unrolled: 1-line block ×3, first 2 shown]
	v_fma_f32 v2, v102, s8, -v103
	v_add_f32_e32 v18, v41, v18
	v_add_f32_e32 v0, v2, v0
	v_fma_f32 v2, v104, s1, -v105
	v_add_f32_e32 v18, v50, v18
	v_fmac_f32_e32 v158, 0xbeedf032, v92
	v_add_f32_e32 v0, v2, v0
	v_fma_f32 v2, v106, s11, -v107
	v_add_f32_e32 v18, v42, v18
	v_fma_f32 v37, v102, s11, -v153
	v_add_f32_e32 v1, v1, v158
	v_add_f32_e32 v0, v2, v0
	v_fma_f32 v2, v108, s0, -v109
	v_add_f32_e32 v18, v45, v18
	;; [unrolled: 3-line block ×3, first 2 shown]
	v_fmac_f32_e32 v44, 0xbf7e222b, v3
	v_add_f32_e32 v0, v2, v0
	v_fma_f32 v2, v111, s9, -v112
	v_add_f32_e32 v18, v47, v18
	v_add_f32_e32 v26, v37, v26
	v_fma_f32 v37, v106, s0, -v155
	v_add_f32_e32 v1, v44, v1
	v_fmac_f32_e32 v36, 0xbf6f5d39, v49
	v_add_f32_e32 v0, v2, v0
	v_mul_u32_u24_e32 v2, 0x4e, v96
	v_add_f32_e32 v18, v88, v18
	v_add_f32_e32 v26, v37, v26
	v_fma_f32 v37, v108, s1, -v156
	v_add_f32_e32 v1, v36, v1
	v_fmac_f32_e32 v39, 0xbf29c268, v43
	v_add_u32_e32 v2, v2, v97
	v_add_f32_e32 v18, v99, v18
	v_add_f32_e32 v26, v37, v26
	v_fma_f32 v37, v111, s10, -v157
	v_add_f32_e32 v1, v39, v1
	v_fmac_f32_e32 v53, 0xbe750f2a, v51
	v_lshl_add_u32 v2, v2, 3, v95
	v_add_f32_e32 v26, v37, v26
	v_add_f32_e32 v1, v53, v1
	ds_write2_b64 v2, v[18:19], v[16:17] offset1:6
	ds_write2_b64 v2, v[14:15], v[12:13] offset0:12 offset1:18
	ds_write2_b64 v2, v[10:11], v[8:9] offset0:24 offset1:30
	;; [unrolled: 1-line block ×5, first 2 shown]
	ds_write_b64 v2, v[0:1] offset:576
.LBB0_17:
	s_or_b64 exec, exec, s[2:3]
	s_waitcnt lgkmcnt(0)
	s_barrier
	ds_read2_b64 v[1:4], v94 offset1:78
	ds_read2_b64 v[5:8], v94 offset0:156 offset1:234
	v_add_u32_e32 v23, 0x800, v94
	ds_read2_b64 v[9:12], v23 offset0:56 offset1:134
	v_add_u32_e32 v24, 0xc00, v94
	;; [unrolled: 2-line block ×3, first 2 shown]
	ds_read2_b64 v[17:20], v0 offset0:112 offset1:190
	s_waitcnt lgkmcnt(3)
	v_mul_f32_e32 v25, v33, v6
	v_fmac_f32_e32 v25, v32, v5
	v_mul_f32_e32 v5, v33, v5
	v_fma_f32 v26, v32, v6, -v5
	s_waitcnt lgkmcnt(2)
	v_mul_f32_e32 v5, v35, v9
	v_mul_f32_e32 v27, v35, v10
	v_fma_f32 v36, v34, v10, -v5
	s_waitcnt lgkmcnt(1)
	v_mul_f32_e32 v37, v29, v14
	v_mul_f32_e32 v5, v29, v13
	v_fmac_f32_e32 v27, v34, v9
	v_fmac_f32_e32 v37, v28, v13
	v_fma_f32 v13, v28, v14, -v5
	s_waitcnt lgkmcnt(0)
	v_mul_f32_e32 v5, v31, v17
	v_mul_f32_e32 v10, v31, v18
	v_fma_f32 v14, v30, v18, -v5
	v_mul_f32_e32 v18, v33, v8
	v_add_f32_e32 v6, v27, v37
	v_fmac_f32_e32 v18, v32, v7
	v_mul_f32_e32 v5, v33, v7
	v_fma_f32 v7, -0.5, v6, v1
	v_fmac_f32_e32 v10, v30, v17
	v_fma_f32 v32, v32, v8, -v5
	v_mul_f32_e32 v33, v35, v12
	v_mul_f32_e32 v5, v35, v11
	v_sub_f32_e32 v6, v26, v14
	v_mov_b32_e32 v9, v7
	v_fmac_f32_e32 v33, v34, v11
	v_fma_f32 v34, v34, v12, -v5
	v_fmac_f32_e32 v9, 0xbf737871, v6
	v_sub_f32_e32 v8, v36, v13
	v_sub_f32_e32 v11, v25, v27
	;; [unrolled: 1-line block ×3, first 2 shown]
	v_fmac_f32_e32 v7, 0x3f737871, v6
	v_mul_f32_e32 v35, v29, v16
	v_mul_f32_e32 v5, v29, v15
	v_fmac_f32_e32 v9, 0xbf167918, v8
	v_add_f32_e32 v11, v11, v12
	v_fmac_f32_e32 v7, 0x3f167918, v8
	v_fmac_f32_e32 v35, v28, v15
	v_fma_f32 v28, v28, v16, -v5
	v_mul_f32_e32 v29, v31, v20
	v_mul_f32_e32 v5, v31, v19
	v_fmac_f32_e32 v9, 0x3e9e377a, v11
	v_fmac_f32_e32 v7, 0x3e9e377a, v11
	v_add_f32_e32 v11, v25, v10
	v_fmac_f32_e32 v29, v30, v19
	v_fma_f32 v30, v30, v20, -v5
	v_add_f32_e32 v5, v1, v25
	v_fma_f32 v1, -0.5, v11, v1
	v_mov_b32_e32 v11, v1
	v_add_f32_e32 v5, v5, v27
	v_fmac_f32_e32 v11, 0x3f737871, v8
	v_fmac_f32_e32 v1, 0xbf737871, v8
	v_add_f32_e32 v8, v36, v13
	v_add_f32_e32 v5, v5, v37
	v_sub_f32_e32 v12, v27, v25
	v_sub_f32_e32 v15, v37, v10
	v_fma_f32 v8, -0.5, v8, v2
	v_add_f32_e32 v5, v5, v10
	v_fmac_f32_e32 v11, 0xbf167918, v6
	v_add_f32_e32 v12, v12, v15
	v_fmac_f32_e32 v1, 0x3f167918, v6
	v_sub_f32_e32 v15, v25, v10
	v_mov_b32_e32 v10, v8
	v_fmac_f32_e32 v11, 0x3e9e377a, v12
	v_fmac_f32_e32 v1, 0x3e9e377a, v12
	;; [unrolled: 1-line block ×3, first 2 shown]
	v_sub_f32_e32 v16, v27, v37
	v_sub_f32_e32 v12, v26, v36
	;; [unrolled: 1-line block ×3, first 2 shown]
	v_fmac_f32_e32 v8, 0xbf737871, v15
	v_fmac_f32_e32 v10, 0x3f167918, v16
	v_add_f32_e32 v12, v12, v17
	v_fmac_f32_e32 v8, 0xbf167918, v16
	v_add_f32_e32 v6, v2, v26
	v_fmac_f32_e32 v10, 0x3e9e377a, v12
	v_fmac_f32_e32 v8, 0x3e9e377a, v12
	v_add_f32_e32 v12, v26, v14
	v_add_f32_e32 v6, v6, v36
	v_fma_f32 v2, -0.5, v12, v2
	v_add_f32_e32 v6, v6, v13
	v_mov_b32_e32 v12, v2
	v_add_f32_e32 v6, v6, v14
	v_fmac_f32_e32 v12, 0xbf737871, v16
	v_sub_f32_e32 v13, v13, v14
	v_fmac_f32_e32 v2, 0x3f737871, v16
	v_add_f32_e32 v14, v33, v35
	v_fmac_f32_e32 v12, 0x3f167918, v15
	v_sub_f32_e32 v17, v36, v26
	v_fmac_f32_e32 v2, 0xbf167918, v15
	v_fma_f32 v15, -0.5, v14, v3
	v_add_f32_e32 v13, v17, v13
	v_sub_f32_e32 v14, v32, v30
	v_mov_b32_e32 v17, v15
	v_fmac_f32_e32 v17, 0xbf737871, v14
	v_sub_f32_e32 v16, v34, v28
	v_sub_f32_e32 v19, v18, v33
	;; [unrolled: 1-line block ×3, first 2 shown]
	v_fmac_f32_e32 v15, 0x3f737871, v14
	v_fmac_f32_e32 v17, 0xbf167918, v16
	v_add_f32_e32 v19, v19, v20
	v_fmac_f32_e32 v15, 0x3f167918, v16
	v_fmac_f32_e32 v17, 0x3e9e377a, v19
	;; [unrolled: 1-line block ×3, first 2 shown]
	v_add_f32_e32 v19, v18, v29
	v_fmac_f32_e32 v12, 0x3e9e377a, v13
	v_fmac_f32_e32 v2, 0x3e9e377a, v13
	v_add_f32_e32 v13, v3, v18
	v_fma_f32 v3, -0.5, v19, v3
	v_mov_b32_e32 v19, v3
	v_fmac_f32_e32 v19, 0x3f737871, v16
	v_fmac_f32_e32 v3, 0xbf737871, v16
	v_add_f32_e32 v16, v34, v28
	v_sub_f32_e32 v20, v33, v18
	v_sub_f32_e32 v25, v35, v29
	v_fma_f32 v16, -0.5, v16, v4
	v_fmac_f32_e32 v19, 0xbf167918, v14
	v_add_f32_e32 v20, v20, v25
	v_fmac_f32_e32 v3, 0x3f167918, v14
	v_sub_f32_e32 v25, v18, v29
	v_mov_b32_e32 v18, v16
	v_fmac_f32_e32 v19, 0x3e9e377a, v20
	v_fmac_f32_e32 v3, 0x3e9e377a, v20
	;; [unrolled: 1-line block ×3, first 2 shown]
	v_sub_f32_e32 v26, v33, v35
	v_sub_f32_e32 v20, v32, v34
	;; [unrolled: 1-line block ×3, first 2 shown]
	v_fmac_f32_e32 v16, 0xbf737871, v25
	v_fmac_f32_e32 v18, 0x3f167918, v26
	v_add_f32_e32 v20, v20, v27
	v_fmac_f32_e32 v16, 0xbf167918, v26
	v_fmac_f32_e32 v18, 0x3e9e377a, v20
	;; [unrolled: 1-line block ×3, first 2 shown]
	v_add_f32_e32 v20, v32, v30
	v_add_f32_e32 v14, v4, v32
	v_fmac_f32_e32 v4, -0.5, v20
	v_add_f32_e32 v14, v14, v34
	v_mov_b32_e32 v20, v4
	v_add_f32_e32 v13, v13, v33
	v_add_f32_e32 v14, v14, v28
	v_fmac_f32_e32 v20, 0xbf737871, v26
	v_sub_f32_e32 v27, v34, v32
	v_sub_f32_e32 v28, v28, v30
	v_fmac_f32_e32 v4, 0x3f737871, v26
	v_add_f32_e32 v13, v13, v35
	v_fmac_f32_e32 v20, 0x3f167918, v25
	v_add_f32_e32 v27, v27, v28
	;; [unrolled: 2-line block ×3, first 2 shown]
	v_add_f32_e32 v14, v14, v30
	v_fmac_f32_e32 v20, 0x3e9e377a, v27
	v_fmac_f32_e32 v4, 0x3e9e377a, v27
	s_barrier
	ds_write2_b64 v94, v[5:6], v[9:10] offset1:78
	ds_write2_b64 v94, v[11:12], v[1:2] offset0:156 offset1:234
	ds_write2_b64 v23, v[7:8], v[13:14] offset0:56 offset1:134
	;; [unrolled: 1-line block ×4, first 2 shown]
	s_waitcnt lgkmcnt(0)
	s_barrier
	ds_read2_b64 v[1:4], v23 offset0:56 offset1:134
	ds_read2_b64 v[5:8], v94 offset1:78
	ds_read2_b64 v[9:12], v24 offset0:84 offset1:162
	ds_read2_b64 v[13:16], v94 offset0:156 offset1:234
	;; [unrolled: 1-line block ×3, first 2 shown]
	s_waitcnt lgkmcnt(4)
	v_mul_f32_e32 v25, v78, v4
	v_fmac_f32_e32 v25, v77, v3
	v_mul_f32_e32 v3, v78, v3
	v_fma_f32 v4, v77, v4, -v3
	s_waitcnt lgkmcnt(2)
	v_mul_f32_e32 v3, v80, v9
	v_mul_f32_e32 v26, v80, v10
	v_fma_f32 v10, v79, v10, -v3
	v_mul_f32_e32 v3, v82, v11
	v_mul_f32_e32 v27, v82, v12
	v_fma_f32 v12, v81, v12, -v3
	s_waitcnt lgkmcnt(0)
	v_mul_f32_e32 v3, v84, v17
	v_mul_f32_e32 v28, v84, v18
	v_fma_f32 v18, v83, v18, -v3
	v_mul_f32_e32 v29, v86, v20
	v_mul_f32_e32 v3, v86, v19
	v_fmac_f32_e32 v26, v79, v9
	v_fmac_f32_e32 v29, v85, v19
	v_fma_f32 v20, v85, v20, -v3
	v_fmac_f32_e32 v27, v81, v11
	v_fmac_f32_e32 v28, v83, v17
	v_sub_f32_e32 v3, v5, v25
	v_sub_f32_e32 v4, v6, v4
	;; [unrolled: 1-line block ×6, first 2 shown]
	v_mad_u64_u32 v[21:22], s[0:1], s6, v68, 0
	v_fma_f32 v5, v5, 2.0, -v3
	v_fma_f32 v6, v6, 2.0, -v4
	;; [unrolled: 1-line block ×4, first 2 shown]
	v_sub_f32_e32 v11, v13, v27
	v_sub_f32_e32 v12, v14, v12
	;; [unrolled: 1-line block ×4, first 2 shown]
	v_fma_f32 v1, v1, 2.0, -v19
	v_fma_f32 v2, v2, 2.0, -v20
	v_fma_f32 v13, v13, 2.0, -v11
	v_fma_f32 v14, v14, 2.0, -v12
	v_fma_f32 v15, v15, 2.0, -v17
	v_fma_f32 v16, v16, 2.0, -v18
	ds_write2_b64 v94, v[5:6], v[7:8] offset1:78
	ds_write_b64 v94, v[9:10] offset:3744
	ds_write_b64 v91, v[11:12] offset:3120
	ds_write2_b64 v94, v[13:14], v[15:16] offset0:156 offset1:234
	ds_write_b64 v90, v[17:18] offset:3120
	ds_write2_b64 v23, v[1:2], v[3:4] offset0:56 offset1:134
	ds_write_b64 v89, v[19:20] offset:3120
	s_waitcnt lgkmcnt(0)
	s_barrier
	ds_read2_b64 v[1:4], v94 offset1:78
	v_mov_b32_e32 v5, v22
	v_mad_u64_u32 v[5:6], s[0:1], s7, v68, v[5:6]
	s_mov_b32 s0, 0x15015015
	s_waitcnt lgkmcnt(0)
	v_mul_f32_e32 v6, v72, v2
	v_fmac_f32_e32 v6, v71, v1
	v_cvt_f64_f32_e32 v[6:7], v6
	s_mov_b32 s1, 0x3f550150
	v_mad_u64_u32 v[9:10], s[2:3], s4, v93, 0
	v_mul_f64 v[6:7], v[6:7], s[0:1]
	v_mul_f32_e32 v1, v72, v1
	v_fma_f32 v1, v71, v2, -v1
	v_cvt_f64_f32_e32 v[1:2], v1
	v_mov_b32_e32 v22, v5
	v_mov_b32_e32 v5, v10
	;; [unrolled: 1-line block ×3, first 2 shown]
	v_mul_f64 v[1:2], v[1:2], s[0:1]
	v_mad_u64_u32 v[10:11], s[2:3], s5, v93, v[5:6]
	v_cvt_f32_f64_e32 v11, v[6:7]
	ds_read2_b64 v[5:8], v23 offset0:56 offset1:134
	v_lshlrev_b64 v[9:10], 3, v[9:10]
	s_mul_i32 s2, s5, 0xc30
	s_mul_hi_u32 s3, s4, 0xc30
	v_cvt_f32_f64_e32 v12, v[1:2]
	s_waitcnt lgkmcnt(0)
	v_mul_f32_e32 v13, v76, v8
	v_fmac_f32_e32 v13, v75, v7
	v_mul_f32_e32 v7, v76, v7
	v_fma_f32 v7, v75, v8, -v7
	v_cvt_f64_f32_e32 v[13:14], v13
	v_cvt_f64_f32_e32 v[7:8], v7
	v_lshlrev_b64 v[1:2], 3, v[21:22]
	s_add_i32 s2, s3, s2
	v_add_co_u32_e32 v16, vcc, s12, v1
	v_addc_co_u32_e32 v15, vcc, v15, v2, vcc
	v_mul_f64 v[1:2], v[13:14], s[0:1]
	v_mul_f64 v[7:8], v[7:8], s[0:1]
	v_add_co_u32_e32 v9, vcc, v16, v9
	v_addc_co_u32_e32 v10, vcc, v15, v10, vcc
	s_mul_i32 s3, s4, 0xc30
	global_store_dwordx2 v[9:10], v[11:12], off
	v_cvt_f32_f64_e32 v1, v[1:2]
	v_cvt_f32_f64_e32 v2, v[7:8]
	v_mul_f32_e32 v7, v74, v4
	v_fmac_f32_e32 v7, v73, v3
	v_mul_f32_e32 v3, v74, v3
	v_fma_f32 v3, v73, v4, -v3
	v_cvt_f64_f32_e32 v[3:4], v3
	v_cvt_f64_f32_e32 v[7:8], v7
	v_mov_b32_e32 v11, s2
	v_add_co_u32_e32 v9, vcc, s3, v9
	v_mul_f64 v[3:4], v[3:4], s[0:1]
	v_mul_f64 v[7:8], v[7:8], s[0:1]
	v_addc_co_u32_e32 v10, vcc, v10, v11, vcc
	global_store_dwordx2 v[9:10], v[1:2], off
	s_mul_hi_u32 s6, s4, 0xfffff640
	s_mulk_i32 s5, 0xf640
	s_sub_i32 s6, s6, s4
	v_cvt_f32_f64_e32 v12, v[3:4]
	ds_read2_b64 v[1:4], v24 offset0:84 offset1:162
	v_cvt_f32_f64_e32 v11, v[7:8]
	s_add_i32 s5, s6, s5
	s_mulk_i32 s4, 0xf640
	v_mov_b32_e32 v16, s5
	s_waitcnt lgkmcnt(0)
	v_mul_f32_e32 v7, v70, v2
	v_fmac_f32_e32 v7, v69, v1
	v_mul_f32_e32 v1, v70, v1
	v_fma_f32 v1, v69, v2, -v1
	v_cvt_f64_f32_e32 v[1:2], v1
	v_cvt_f64_f32_e32 v[7:8], v7
	v_add_co_u32_e32 v15, vcc, s4, v9
	v_mul_f64 v[1:2], v[1:2], s[0:1]
	v_mul_f64 v[13:14], v[7:8], s[0:1]
	v_addc_co_u32_e32 v16, vcc, v10, v16, vcc
	ds_read2_b64 v[7:10], v94 offset0:156 offset1:234
	global_store_dwordx2 v[15:16], v[11:12], off
	v_cvt_f32_f64_e32 v12, v[1:2]
	s_waitcnt lgkmcnt(0)
	v_mul_f32_e32 v1, v67, v8
	v_fmac_f32_e32 v1, v66, v7
	v_mul_f32_e32 v7, v67, v7
	v_fma_f32 v7, v66, v8, -v7
	v_cvt_f64_f32_e32 v[1:2], v1
	v_cvt_f64_f32_e32 v[7:8], v7
	v_cvt_f32_f64_e32 v11, v[13:14]
	v_mov_b32_e32 v14, s2
	v_add_co_u32_e32 v13, vcc, s3, v15
	v_addc_co_u32_e32 v14, vcc, v16, v14, vcc
	v_mul_f64 v[1:2], v[1:2], s[0:1]
	v_mul_f64 v[7:8], v[7:8], s[0:1]
	global_store_dwordx2 v[13:14], v[11:12], off
	v_mul_f32_e32 v11, v65, v4
	v_fmac_f32_e32 v11, v64, v3
	v_mul_f32_e32 v3, v65, v3
	v_fma_f32 v3, v64, v4, -v3
	v_cvt_f64_f32_e32 v[11:12], v11
	v_cvt_f64_f32_e32 v[3:4], v3
	v_cvt_f32_f64_e32 v1, v[1:2]
	v_cvt_f32_f64_e32 v2, v[7:8]
	v_mul_f64 v[7:8], v[11:12], s[0:1]
	v_mul_f64 v[3:4], v[3:4], s[0:1]
	v_mov_b32_e32 v12, s5
	v_add_co_u32_e32 v11, vcc, s4, v13
	v_addc_co_u32_e32 v12, vcc, v14, v12, vcc
	global_store_dwordx2 v[11:12], v[1:2], off
	v_mul_f32_e32 v1, v63, v10
	v_fmac_f32_e32 v1, v62, v9
	v_cvt_f64_f32_e32 v[13:14], v1
	v_mul_f32_e32 v1, v63, v9
	v_fma_f32 v1, v62, v10, -v1
	v_cvt_f32_f64_e32 v7, v[7:8]
	v_cvt_f32_f64_e32 v8, v[3:4]
	v_cvt_f64_f32_e32 v[9:10], v1
	ds_read2_b64 v[0:3], v0 offset0:112 offset1:190
	v_mov_b32_e32 v4, s2
	v_add_co_u32_e32 v11, vcc, s3, v11
	v_addc_co_u32_e32 v12, vcc, v12, v4, vcc
	s_waitcnt lgkmcnt(0)
	v_mul_f32_e32 v4, v61, v1
	v_fmac_f32_e32 v4, v60, v0
	v_mul_f32_e32 v0, v61, v0
	v_fma_f32 v0, v60, v1, -v0
	global_store_dwordx2 v[11:12], v[7:8], off
	v_mul_f64 v[7:8], v[13:14], s[0:1]
	v_mul_f64 v[9:10], v[9:10], s[0:1]
	v_cvt_f64_f32_e32 v[0:1], v0
	v_cvt_f64_f32_e32 v[13:14], v4
	v_mov_b32_e32 v4, s5
	v_add_co_u32_e32 v11, vcc, s4, v11
	v_mul_f64 v[0:1], v[0:1], s[0:1]
	v_cvt_f32_f64_e32 v7, v[7:8]
	v_cvt_f32_f64_e32 v8, v[9:10]
	v_mul_f64 v[9:10], v[13:14], s[0:1]
	v_addc_co_u32_e32 v12, vcc, v12, v4, vcc
	global_store_dwordx2 v[11:12], v[7:8], off
	v_mul_f32_e32 v4, v59, v5
	v_cvt_f32_f64_e32 v8, v[0:1]
	v_mul_f32_e32 v0, v59, v6
	v_fmac_f32_e32 v0, v58, v5
	v_fma_f32 v4, v58, v6, -v4
	v_cvt_f64_f32_e32 v[0:1], v0
	v_cvt_f64_f32_e32 v[4:5], v4
	v_cvt_f32_f64_e32 v7, v[9:10]
	v_mul_f32_e32 v6, v57, v3
	v_mul_f64 v[0:1], v[0:1], s[0:1]
	v_mul_f64 v[4:5], v[4:5], s[0:1]
	v_mov_b32_e32 v10, s2
	v_add_co_u32_e32 v9, vcc, s3, v11
	v_fmac_f32_e32 v6, v56, v2
	v_mul_f32_e32 v2, v57, v2
	v_addc_co_u32_e32 v10, vcc, v12, v10, vcc
	v_fma_f32 v2, v56, v3, -v2
	global_store_dwordx2 v[9:10], v[7:8], off
	v_cvt_f64_f32_e32 v[6:7], v6
	v_cvt_f64_f32_e32 v[2:3], v2
	v_cvt_f32_f64_e32 v0, v[0:1]
	v_cvt_f32_f64_e32 v1, v[4:5]
	v_mul_f64 v[4:5], v[6:7], s[0:1]
	v_mul_f64 v[2:3], v[2:3], s[0:1]
	v_mov_b32_e32 v7, s5
	v_add_co_u32_e32 v6, vcc, s4, v9
	v_addc_co_u32_e32 v7, vcc, v10, v7, vcc
	global_store_dwordx2 v[6:7], v[0:1], off
	v_cvt_f32_f64_e32 v0, v[4:5]
	v_cvt_f32_f64_e32 v1, v[2:3]
	v_mov_b32_e32 v3, s2
	v_add_co_u32_e32 v2, vcc, s3, v6
	v_addc_co_u32_e32 v3, vcc, v7, v3, vcc
	global_store_dwordx2 v[2:3], v[0:1], off
.LBB0_18:
	s_endpgm
	.section	.rodata,"a",@progbits
	.p2align	6, 0x0
	.amdhsa_kernel bluestein_single_back_len780_dim1_sp_op_CI_CI
		.amdhsa_group_segment_fixed_size 18720
		.amdhsa_private_segment_fixed_size 0
		.amdhsa_kernarg_size 104
		.amdhsa_user_sgpr_count 6
		.amdhsa_user_sgpr_private_segment_buffer 1
		.amdhsa_user_sgpr_dispatch_ptr 0
		.amdhsa_user_sgpr_queue_ptr 0
		.amdhsa_user_sgpr_kernarg_segment_ptr 1
		.amdhsa_user_sgpr_dispatch_id 0
		.amdhsa_user_sgpr_flat_scratch_init 0
		.amdhsa_user_sgpr_private_segment_size 0
		.amdhsa_uses_dynamic_stack 0
		.amdhsa_system_sgpr_private_segment_wavefront_offset 0
		.amdhsa_system_sgpr_workgroup_id_x 1
		.amdhsa_system_sgpr_workgroup_id_y 0
		.amdhsa_system_sgpr_workgroup_id_z 0
		.amdhsa_system_sgpr_workgroup_info 0
		.amdhsa_system_vgpr_workitem_id 0
		.amdhsa_next_free_vgpr 223
		.amdhsa_next_free_sgpr 20
		.amdhsa_reserve_vcc 1
		.amdhsa_reserve_flat_scratch 0
		.amdhsa_float_round_mode_32 0
		.amdhsa_float_round_mode_16_64 0
		.amdhsa_float_denorm_mode_32 3
		.amdhsa_float_denorm_mode_16_64 3
		.amdhsa_dx10_clamp 1
		.amdhsa_ieee_mode 1
		.amdhsa_fp16_overflow 0
		.amdhsa_exception_fp_ieee_invalid_op 0
		.amdhsa_exception_fp_denorm_src 0
		.amdhsa_exception_fp_ieee_div_zero 0
		.amdhsa_exception_fp_ieee_overflow 0
		.amdhsa_exception_fp_ieee_underflow 0
		.amdhsa_exception_fp_ieee_inexact 0
		.amdhsa_exception_int_div_zero 0
	.end_amdhsa_kernel
	.text
.Lfunc_end0:
	.size	bluestein_single_back_len780_dim1_sp_op_CI_CI, .Lfunc_end0-bluestein_single_back_len780_dim1_sp_op_CI_CI
                                        ; -- End function
	.section	.AMDGPU.csdata,"",@progbits
; Kernel info:
; codeLenInByte = 13780
; NumSgprs: 24
; NumVgprs: 223
; ScratchSize: 0
; MemoryBound: 0
; FloatMode: 240
; IeeeMode: 1
; LDSByteSize: 18720 bytes/workgroup (compile time only)
; SGPRBlocks: 2
; VGPRBlocks: 55
; NumSGPRsForWavesPerEU: 24
; NumVGPRsForWavesPerEU: 223
; Occupancy: 1
; WaveLimiterHint : 1
; COMPUTE_PGM_RSRC2:SCRATCH_EN: 0
; COMPUTE_PGM_RSRC2:USER_SGPR: 6
; COMPUTE_PGM_RSRC2:TRAP_HANDLER: 0
; COMPUTE_PGM_RSRC2:TGID_X_EN: 1
; COMPUTE_PGM_RSRC2:TGID_Y_EN: 0
; COMPUTE_PGM_RSRC2:TGID_Z_EN: 0
; COMPUTE_PGM_RSRC2:TIDIG_COMP_CNT: 0
	.type	__hip_cuid_e053453f03f9c892,@object ; @__hip_cuid_e053453f03f9c892
	.section	.bss,"aw",@nobits
	.globl	__hip_cuid_e053453f03f9c892
__hip_cuid_e053453f03f9c892:
	.byte	0                               ; 0x0
	.size	__hip_cuid_e053453f03f9c892, 1

	.ident	"AMD clang version 19.0.0git (https://github.com/RadeonOpenCompute/llvm-project roc-6.4.0 25133 c7fe45cf4b819c5991fe208aaa96edf142730f1d)"
	.section	".note.GNU-stack","",@progbits
	.addrsig
	.addrsig_sym __hip_cuid_e053453f03f9c892
	.amdgpu_metadata
---
amdhsa.kernels:
  - .args:
      - .actual_access:  read_only
        .address_space:  global
        .offset:         0
        .size:           8
        .value_kind:     global_buffer
      - .actual_access:  read_only
        .address_space:  global
        .offset:         8
        .size:           8
        .value_kind:     global_buffer
      - .actual_access:  read_only
        .address_space:  global
        .offset:         16
        .size:           8
        .value_kind:     global_buffer
      - .actual_access:  read_only
        .address_space:  global
        .offset:         24
        .size:           8
        .value_kind:     global_buffer
      - .actual_access:  read_only
        .address_space:  global
        .offset:         32
        .size:           8
        .value_kind:     global_buffer
      - .offset:         40
        .size:           8
        .value_kind:     by_value
      - .address_space:  global
        .offset:         48
        .size:           8
        .value_kind:     global_buffer
      - .address_space:  global
        .offset:         56
        .size:           8
        .value_kind:     global_buffer
      - .address_space:  global
        .offset:         64
        .size:           8
        .value_kind:     global_buffer
      - .address_space:  global
        .offset:         72
        .size:           8
        .value_kind:     global_buffer
      - .offset:         80
        .size:           4
        .value_kind:     by_value
      - .address_space:  global
        .offset:         88
        .size:           8
        .value_kind:     global_buffer
      - .address_space:  global
        .offset:         96
        .size:           8
        .value_kind:     global_buffer
    .group_segment_fixed_size: 18720
    .kernarg_segment_align: 8
    .kernarg_segment_size: 104
    .language:       OpenCL C
    .language_version:
      - 2
      - 0
    .max_flat_workgroup_size: 234
    .name:           bluestein_single_back_len780_dim1_sp_op_CI_CI
    .private_segment_fixed_size: 0
    .sgpr_count:     24
    .sgpr_spill_count: 0
    .symbol:         bluestein_single_back_len780_dim1_sp_op_CI_CI.kd
    .uniform_work_group_size: 1
    .uses_dynamic_stack: false
    .vgpr_count:     223
    .vgpr_spill_count: 0
    .wavefront_size: 64
amdhsa.target:   amdgcn-amd-amdhsa--gfx906
amdhsa.version:
  - 1
  - 2
...

	.end_amdgpu_metadata
